;; amdgpu-corpus repo=zjin-lcf/HeCBench kind=compiled arch=gfx1030 opt=O3
	.amdgcn_target "amdgcn-amd-amdhsa--gfx1030"
	.amdhsa_code_object_version 6
	.text
	.p2align	2                               ; -- Begin function _Z15cuda_rys_pbf_dpPKdS0_S0_S0_
	.type	_Z15cuda_rys_pbf_dpPKdS0_S0_S0_,@function
_Z15cuda_rys_pbf_dpPKdS0_S0_S0_:        ; @_Z15cuda_rys_pbf_dpPKdS0_S0_S0_
; %bb.0:
	s_waitcnt vmcnt(0) expcnt(0) lgkmcnt(0)
	s_mov_b32 s16, s33
	s_mov_b32 s33, s32
	s_or_saveexec_b32 s17, -1
	buffer_store_dword v127, off, s[0:3], s33 offset:928 ; 4-byte Folded Spill
	buffer_store_dword v126, off, s[0:3], s33 offset:932 ; 4-byte Folded Spill
	;; [unrolled: 1-line block ×4, first 2 shown]
	s_mov_b32 exec_lo, s17
	v_writelane_b32 v126, s16, 9
	s_addk_i32 s32, 0x7800
	buffer_store_dword v40, off, s[0:3], s33 offset:172 ; 4-byte Folded Spill
	buffer_store_dword v41, off, s[0:3], s33 offset:168 ; 4-byte Folded Spill
	;; [unrolled: 1-line block ×43, first 2 shown]
	buffer_store_dword v123, off, s[0:3], s33 ; 4-byte Folded Spill
	v_writelane_b32 v127, s34, 0
	v_writelane_b32 v127, s35, 1
	;; [unrolled: 1-line block ×41, first 2 shown]
	v_mov_b32_e32 v40, v31
	s_clause 0x1
	flat_load_dwordx4 v[24:27], v[2:3]
	flat_load_dwordx4 v[90:93], v[2:3] offset:48
	s_clause 0x1
	flat_load_dwordx4 v[66:69], v[0:1] offset:48
	flat_load_dwordx4 v[8:11], v[0:1]
	flat_load_dwordx4 v[28:31], v[2:3] offset:16
	s_clause 0x1
	flat_load_dwordx4 v[36:39], v[6:7]
	flat_load_dwordx4 v[80:83], v[6:7] offset:48
	flat_load_dwordx4 v[16:19], v[0:1] offset:16
	;; [unrolled: 1-line block ×3, first 2 shown]
	s_clause 0x2
	flat_load_dwordx4 v[41:44], v[4:5] offset:48
	flat_load_dwordx4 v[20:23], v[4:5]
	flat_load_dwordx4 v[12:15], v[4:5] offset:16
	s_mov_b64 s[62:63], s[4:5]
	s_mov_b64 s[56:57], s[6:7]
	;; [unrolled: 1-line block ×3, first 2 shown]
	s_mov_b32 s99, s15
	s_mov_b32 s84, s14
	;; [unrolled: 1-line block ×4, first 2 shown]
	s_mov_b64 s[90:91], s[10:11]
	s_waitcnt vmcnt(10) lgkmcnt(10)
	v_mul_f64 v[50:51], v[24:25], v[90:91]
	v_mul_f64 v[52:53], v[26:27], v[90:91]
	s_waitcnt vmcnt(9) lgkmcnt(9)
	v_add_f64 v[48:49], v[66:67], v[90:91]
	s_waitcnt vmcnt(7) lgkmcnt(7)
	v_mul_f64 v[54:55], v[28:29], v[90:91]
	s_waitcnt vmcnt(5) lgkmcnt(5)
	v_mul_f64 v[64:65], v[36:37], v[80:81]
	v_mul_f64 v[70:71], v[38:39], v[80:81]
	s_waitcnt vmcnt(3) lgkmcnt(3)
	v_mul_f64 v[98:99], v[32:33], v[80:81]
	v_fma_f64 v[50:51], v[8:9], v[66:67], v[50:51]
	v_fma_f64 v[52:53], v[10:11], v[66:67], v[52:53]
	buffer_store_dword v66, off, s[0:3], s33 offset:856 ; 4-byte Folded Spill
	buffer_store_dword v67, off, s[0:3], s33 offset:860 ; 4-byte Folded Spill
	;; [unrolled: 1-line block ×4, first 2 shown]
	s_waitcnt vmcnt(1) lgkmcnt(1)
	v_fma_f64 v[100:101], v[20:21], v[41:42], v[64:65]
	v_fma_f64 v[70:71], v[22:23], v[41:42], v[70:71]
	v_div_scale_f64 v[96:97], null, v[48:49], v[48:49], v[50:51]
	v_div_scale_f64 v[116:117], null, v[48:49], v[48:49], v[52:53]
	v_rcp_f64_e32 v[102:103], v[96:97]
	v_fma_f64 v[54:55], v[16:17], v[66:67], v[54:55]
	flat_load_dwordx4 v[66:69], v[0:1] offset:32
	buffer_store_dword v80, off, s[0:3], s33 offset:872 ; 4-byte Folded Spill
	buffer_store_dword v81, off, s[0:3], s33 offset:876 ; 4-byte Folded Spill
	;; [unrolled: 1-line block ×4, first 2 shown]
	v_div_scale_f64 v[118:119], null, v[48:49], v[48:49], v[54:55]
	v_add_f64 v[0:1], v[41:42], v[80:81]
	flat_load_dwordx4 v[80:83], v[2:3] offset:32
	flat_load_dwordx4 v[84:87], v[4:5] offset:32
	;; [unrolled: 1-line block ×3, first 2 shown]
	buffer_store_dword v41, off, s[0:3], s33 offset:888 ; 4-byte Folded Spill
	buffer_store_dword v42, off, s[0:3], s33 offset:892 ; 4-byte Folded Spill
	buffer_store_dword v43, off, s[0:3], s33 offset:896 ; 4-byte Folded Spill
	buffer_store_dword v44, off, s[0:3], s33 offset:900 ; 4-byte Folded Spill
	v_rcp_f64_e32 v[6:7], v[116:117]
	v_rcp_f64_e32 v[43:44], v[118:119]
	v_mul_f64 v[64:65], v[48:49], v[0:1]
	v_add_f64 v[94:95], v[48:49], v[0:1]
	v_div_scale_f64 v[2:3], null, v[0:1], v[0:1], v[100:101]
	v_div_scale_f64 v[4:5], null, v[0:1], v[0:1], v[70:71]
	v_fma_f64 v[62:63], -v[118:119], v[43:44], 1.0
	v_div_scale_f64 v[56:57], null, v[94:95], v[94:95], v[64:65]
	v_rcp_f64_e32 v[58:59], v[2:3]
	v_rcp_f64_e32 v[60:61], v[4:5]
	v_fma_f64 v[43:44], v[43:44], v[62:63], v[43:44]
	v_rcp_f64_e32 v[74:75], v[56:57]
	v_fma_f64 v[76:77], -v[2:3], v[58:59], 1.0
	v_fma_f64 v[88:89], -v[56:57], v[74:75], 1.0
	v_fma_f64 v[58:59], v[58:59], v[76:77], v[58:59]
	v_div_scale_f64 v[76:77], vcc_lo, v[50:51], v[48:49], v[50:51]
	s_waitcnt vmcnt(4) lgkmcnt(4)
	v_fma_f64 v[98:99], v[12:13], v[41:42], v[98:99]
	v_fma_f64 v[41:42], -v[96:97], v[102:103], 1.0
	v_div_scale_f64 v[45:46], null, v[0:1], v[0:1], v[98:99]
	v_fma_f64 v[102:103], v[102:103], v[41:42], v[102:103]
	v_fma_f64 v[41:42], -v[116:117], v[6:7], 1.0
	v_rcp_f64_e32 v[72:73], v[45:46]
	v_fma_f64 v[78:79], -v[96:97], v[102:103], 1.0
	v_fma_f64 v[6:7], v[6:7], v[41:42], v[6:7]
	v_fma_f64 v[41:42], -v[4:5], v[60:61], 1.0
	v_fma_f64 v[102:103], v[102:103], v[78:79], v[102:103]
	v_fma_f64 v[62:63], -v[45:46], v[72:73], 1.0
	v_fma_f64 v[78:79], -v[116:117], v[6:7], 1.0
	v_fma_f64 v[41:42], v[60:61], v[41:42], v[60:61]
	v_fma_f64 v[60:61], -v[118:119], v[43:44], 1.0
	v_fma_f64 v[62:63], v[72:73], v[62:63], v[72:73]
	v_fma_f64 v[72:73], v[74:75], v[88:89], v[74:75]
	v_mul_f64 v[88:89], v[76:77], v[102:103]
	v_fma_f64 v[74:75], -v[2:3], v[58:59], 1.0
	v_fma_f64 v[6:7], v[6:7], v[78:79], v[6:7]
	v_fma_f64 v[78:79], -v[4:5], v[41:42], 1.0
	v_fma_f64 v[43:44], v[43:44], v[60:61], v[43:44]
	v_div_scale_f64 v[60:61], s4, v[52:53], v[48:49], v[52:53]
	v_fma_f64 v[96:97], -v[96:97], v[88:89], v[76:77]
	v_div_scale_f64 v[76:77], s5, v[54:55], v[48:49], v[54:55]
	v_fma_f64 v[58:59], v[58:59], v[74:75], v[58:59]
	v_fma_f64 v[41:42], v[41:42], v[78:79], v[41:42]
	v_mul_f64 v[74:75], v[60:61], v[6:7]
	v_div_scale_f64 v[78:79], s6, v[100:101], v[0:1], v[100:101]
	v_div_fmas_f64 v[96:97], v[96:97], v[102:103], v[88:89]
	v_mul_f64 v[102:103], v[76:77], v[43:44]
	v_div_scale_f64 v[88:89], s7, v[70:71], v[0:1], v[70:71]
	s_mov_b32 vcc_lo, s4
	v_fma_f64 v[116:117], -v[116:117], v[74:75], v[60:61]
	v_mul_f64 v[60:61], v[78:79], v[58:59]
	v_fma_f64 v[118:119], -v[118:119], v[102:103], v[76:77]
	v_mul_f64 v[76:77], v[88:89], v[41:42]
	v_div_fmas_f64 v[6:7], v[116:117], v[6:7], v[74:75]
	v_fma_f64 v[2:3], -v[2:3], v[60:61], v[78:79]
	s_mov_b32 vcc_lo, s5
	v_fma_f64 v[78:79], -v[45:46], v[62:63], 1.0
	v_div_fmas_f64 v[102:103], v[118:119], v[43:44], v[102:103]
	v_fma_f64 v[4:5], -v[4:5], v[76:77], v[88:89]
	s_mov_b32 vcc_lo, s6
	v_div_scale_f64 v[88:89], s8, v[98:99], v[0:1], v[98:99]
	v_div_fmas_f64 v[116:117], v[2:3], v[58:59], v[60:61]
	s_mov_b32 vcc_lo, s7
	v_fma_f64 v[62:63], v[62:63], v[78:79], v[62:63]
	v_fma_f64 v[78:79], -v[56:57], v[72:73], 1.0
	v_div_fixup_f64 v[2:3], v[6:7], v[48:49], v[52:53]
	v_div_fixup_f64 v[6:7], v[96:97], v[48:49], v[50:51]
	s_waitcnt vmcnt(2) lgkmcnt(2)
	v_cvt_i32_f64_e32 v58, v[80:81]
	v_div_fmas_f64 v[4:5], v[4:5], v[41:42], v[76:77]
	v_div_scale_f64 v[41:42], s4, v[64:65], v[94:95], v[64:65]
	buffer_store_dword v94, off, s[0:3], s33 offset:724 ; 4-byte Folded Spill
	buffer_store_dword v95, off, s[0:3], s33 offset:728 ; 4-byte Folded Spill
	s_mov_b32 vcc_lo, s8
	v_div_fixup_f64 v[50:51], v[116:117], v[0:1], v[100:101]
	v_mul_f64 v[118:119], v[88:89], v[62:63]
	v_fma_f64 v[43:44], v[72:73], v[78:79], v[72:73]
	v_div_fixup_f64 v[4:5], v[4:5], v[0:1], v[70:71]
	v_fma_f64 v[52:53], -v[45:46], v[118:119], v[88:89]
	v_mul_f64 v[70:71], v[41:42], v[43:44]
	s_waitcnt vmcnt(0) lgkmcnt(0)
	v_cvt_i32_f64_e32 v45, v[112:113]
	v_cvt_i32_f64_e32 v46, v[114:115]
	v_add_f64 v[96:97], v[2:3], -v[4:5]
	v_div_fmas_f64 v[100:101], v[52:53], v[62:63], v[118:119]
	v_fma_f64 v[116:117], -v[56:57], v[70:71], v[41:42]
	s_mov_b32 vcc_lo, s4
	v_div_fixup_f64 v[52:53], v[102:103], v[48:49], v[54:55]
	v_add_f64 v[102:103], v[6:7], -v[50:51]
	v_cvt_i32_f64_e32 v41, v[30:31]
	v_mul_f64 v[96:97], v[96:97], v[96:97]
	v_div_fixup_f64 v[54:55], v[100:101], v[0:1], v[98:99]
	v_cvt_i32_f64_e32 v101, v[18:19]
	v_div_fmas_f64 v[18:19], v[116:117], v[43:44], v[70:71]
	v_cvt_i32_f64_e32 v44, v[34:35]
	v_cvt_i32_f64_e32 v100, v[66:67]
	;; [unrolled: 1-line block ×5, first 2 shown]
	v_fma_f64 v[66:67], v[102:103], v[102:103], v[96:97]
	v_cvt_i32_f64_e32 v103, v[14:15]
	v_cvt_i32_f64_e32 v102, v[84:85]
	v_add_f64 v[70:71], v[52:53], -v[54:55]
	v_add_nc_u32_e32 v30, v100, v101
	v_fma_f64 v[14:15], v[70:71], v[70:71], v[66:67]
	v_div_fixup_f64 v[34:35], v[18:19], v[94:95], v[64:65]
	v_add3_u32 v18, v30, v98, v41
	buffer_store_dword v34, off, s[0:3], s33 offset:904 ; 4-byte Folded Spill
	buffer_store_dword v35, off, s[0:3], s33 offset:908 ; 4-byte Folded Spill
	v_add3_u32 v18, v18, v58, v43
	v_add3_u32 v18, v18, v103, v102
	;; [unrolled: 1-line block ×4, first 2 shown]
	v_lshrrev_b32_e32 v18, 31, v112
	v_cmp_lt_i32_e32 vcc_lo, 5, v112
	v_add_nc_u32_e32 v18, v112, v18
	v_ashrrev_i32_e32 v18, 1, v18
	buffer_store_dword v18, off, s[0:3], s33 offset:720 ; 4-byte Folded Spill
	v_mul_f64 v[14:15], v[34:35], v[14:15]
	s_and_saveexec_b32 s4, vcc_lo
                                        ; implicit-def: $vgpr124 : SGPR spill to VGPR lane
	s_xor_b32 vcc_hi, exec_lo, s4
	v_writelane_b32 v124, s90, 0
	v_writelane_b32 v124, s91, 1
	;; [unrolled: 1-line block ×8, first 2 shown]
	s_cbranch_execz .LBB0_82
; %bb.1:
	buffer_load_dword v18, off, s[0:3], s33 offset:720 ; 4-byte Folded Reload
	s_mov_b32 s4, exec_lo
	s_waitcnt vmcnt(0)
	v_cmpx_lt_i32_e32 3, v18
	s_xor_b32 s30, exec_lo, s4
	s_cbranch_execz .LBB0_41
; %bb.2:
	buffer_load_dword v18, off, s[0:3], s33 offset:720 ; 4-byte Folded Reload
	s_mov_b32 s31, exec_lo
	s_waitcnt vmcnt(0)
	v_cmpx_eq_u32_e32 4, v18
	s_cbranch_execz .LBB0_40
; %bb.3:
	s_mov_b32 s4, 0xf40d8376
	s_mov_b32 s5, 0x3e9421f5
                                        ; implicit-def: $vgpr18_vgpr19
                                        ; implicit-def: $vgpr82_vgpr83
                                        ; implicit-def: $vgpr84_vgpr85
                                        ; implicit-def: $vgpr86_vgpr87
                                        ; implicit-def: $vgpr96_vgpr97
                                        ; implicit-def: $vgpr80_vgpr81
                                        ; implicit-def: $vgpr68_vgpr69
                                        ; implicit-def: $vgpr66_vgpr67
                                        ; implicit-def: $vgpr34_vgpr35
                                        ; implicit-def: $vgpr30_vgpr31
	v_cmp_ngt_f64_e32 vcc_lo, s[4:5], v[14:15]
	s_and_saveexec_b32 s4, vcc_lo
	s_xor_b32 s34, exec_lo, s4
	s_cbranch_execz .LBB0_37
; %bb.4:
                                        ; implicit-def: $vgpr18_vgpr19
                                        ; implicit-def: $vgpr82_vgpr83
                                        ; implicit-def: $vgpr84_vgpr85
                                        ; implicit-def: $vgpr86_vgpr87
                                        ; implicit-def: $vgpr96_vgpr97
                                        ; implicit-def: $vgpr80_vgpr81
                                        ; implicit-def: $vgpr68_vgpr69
                                        ; implicit-def: $vgpr66_vgpr67
                                        ; implicit-def: $vgpr34_vgpr35
                                        ; implicit-def: $vgpr30_vgpr31
	s_mov_b32 s4, exec_lo
	v_cmpx_ngt_f64_e32 1.0, v[14:15]
	s_xor_b32 s35, exec_lo, s4
	s_cbranch_execz .LBB0_34
; %bb.5:
                                        ; implicit-def: $vgpr18_vgpr19
                                        ; implicit-def: $vgpr82_vgpr83
                                        ; implicit-def: $vgpr84_vgpr85
                                        ; implicit-def: $vgpr86_vgpr87
                                        ; implicit-def: $vgpr96_vgpr97
                                        ; implicit-def: $vgpr80_vgpr81
                                        ; implicit-def: $vgpr68_vgpr69
                                        ; implicit-def: $vgpr66_vgpr67
                                        ; implicit-def: $vgpr34_vgpr35
                                        ; implicit-def: $vgpr30_vgpr31
	s_mov_b32 s4, exec_lo
	v_cmpx_ngt_f64_e32 0x40140000, v[14:15]
	s_xor_b32 s36, exec_lo, s4
	s_cbranch_execz .LBB0_31
; %bb.6:
                                        ; implicit-def: $vgpr18_vgpr19
                                        ; implicit-def: $vgpr82_vgpr83
                                        ; implicit-def: $vgpr84_vgpr85
                                        ; implicit-def: $vgpr86_vgpr87
                                        ; implicit-def: $vgpr96_vgpr97
                                        ; implicit-def: $vgpr80_vgpr81
                                        ; implicit-def: $vgpr68_vgpr69
                                        ; implicit-def: $vgpr66_vgpr67
                                        ; implicit-def: $vgpr34_vgpr35
                                        ; implicit-def: $vgpr30_vgpr31
	s_mov_b32 s4, exec_lo
	v_cmpx_ngt_f64_e32 0x40240000, v[14:15]
	;; [unrolled: 15-line block ×6, first 2 shown]
	s_xor_b32 s13, exec_lo, s4
	s_cbranch_execz .LBB0_16
; %bb.11:
	s_mov_b32 s4, 0x54442d15
	s_mov_b32 s5, 0x3fe921fb
                                        ; implicit-def: $vgpr82_vgpr83
                                        ; implicit-def: $vgpr84_vgpr85
                                        ; implicit-def: $vgpr86_vgpr87
                                        ; implicit-def: $vgpr96_vgpr97
                                        ; implicit-def: $vgpr80_vgpr81
                                        ; implicit-def: $vgpr68_vgpr69
	v_div_scale_f64 v[18:19], null, v[14:15], v[14:15], s[4:5]
	v_div_scale_f64 v[66:67], vcc_lo, s[4:5], v[14:15], s[4:5]
	v_rcp_f64_e32 v[30:31], v[18:19]
	v_fma_f64 v[34:35], -v[18:19], v[30:31], 1.0
	v_fma_f64 v[30:31], v[30:31], v[34:35], v[30:31]
	v_fma_f64 v[34:35], -v[18:19], v[30:31], 1.0
	v_fma_f64 v[30:31], v[30:31], v[34:35], v[30:31]
	v_mul_f64 v[34:35], v[66:67], v[30:31]
	v_fma_f64 v[18:19], -v[18:19], v[34:35], v[66:67]
	v_div_fmas_f64 v[18:19], v[18:19], v[30:31], v[34:35]
	v_div_fixup_f64 v[18:19], v[18:19], v[14:15], s[4:5]
	s_mov_b32 s5, exec_lo
	v_cmp_gt_f64_e32 vcc_lo, 0x10000000, v[18:19]
	v_cndmask_b32_e64 v30, 0, 0x100, vcc_lo
	v_ldexp_f64 v[18:19], v[18:19], v30
	v_rsq_f64_e32 v[30:31], v[18:19]
	v_mul_f64 v[34:35], v[18:19], v[30:31]
	v_mul_f64 v[30:31], v[30:31], 0.5
	v_fma_f64 v[66:67], -v[30:31], v[34:35], 0.5
	v_fma_f64 v[34:35], v[34:35], v[66:67], v[34:35]
	v_fma_f64 v[30:31], v[30:31], v[66:67], v[30:31]
	v_fma_f64 v[66:67], -v[34:35], v[34:35], v[18:19]
	v_fma_f64 v[34:35], v[66:67], v[30:31], v[34:35]
	v_fma_f64 v[66:67], -v[34:35], v[34:35], v[18:19]
	v_fma_f64 v[30:31], v[66:67], v[30:31], v[34:35]
	v_cndmask_b32_e64 v34, 0, 0xffffff80, vcc_lo
	v_cmp_class_f64_e64 vcc_lo, v[18:19], 0x260
                                        ; implicit-def: $vgpr66_vgpr67
	v_ldexp_f64 v[30:31], v[30:31], v34
                                        ; implicit-def: $vgpr34_vgpr35
	v_cndmask_b32_e32 v71, v31, v19, vcc_lo
	v_cndmask_b32_e32 v70, v30, v18, vcc_lo
                                        ; implicit-def: $vgpr18_vgpr19
                                        ; implicit-def: $vgpr30_vgpr31
	v_cmpx_ngt_f64_e32 0x404d8000, v[14:15]
	s_xor_b32 s14, exec_lo, s5
	s_cbranch_execz .LBB0_13
; %bb.12:
	s_mov_b32 s5, 0xbfbe19cf
	s_mov_b32 s4, 0x34ee1a66
	;; [unrolled: 1-line block ×3, first 2 shown]
	v_add_f64 v[18:19], v[14:15], s[4:5]
	s_mov_b32 s5, 0x3fbe19cf
	s_mov_b32 s6, 0xefcf0c01
	;; [unrolled: 1-line block ×8, first 2 shown]
	v_div_scale_f64 v[30:31], null, v[18:19], v[18:19], s[4:5]
	v_rcp_f64_e32 v[34:35], v[30:31]
	v_fma_f64 v[66:67], -v[30:31], v[34:35], 1.0
	v_fma_f64 v[34:35], v[34:35], v[66:67], v[34:35]
	v_fma_f64 v[66:67], -v[30:31], v[34:35], 1.0
	v_fma_f64 v[34:35], v[34:35], v[66:67], v[34:35]
	v_div_scale_f64 v[66:67], vcc_lo, s[4:5], v[18:19], s[4:5]
	v_mul_f64 v[68:69], v[66:67], v[34:35]
	v_fma_f64 v[30:31], -v[30:31], v[68:69], v[66:67]
	v_div_fmas_f64 v[30:31], v[30:31], v[34:35], v[68:69]
	v_add_f64 v[34:35], v[14:15], s[6:7]
	s_mov_b32 s7, 0x3ff13167
	v_div_fixup_f64 v[18:19], v[30:31], v[18:19], s[4:5]
	v_div_scale_f64 v[66:67], null, v[34:35], v[34:35], s[6:7]
	s_mov_b32 s5, 0x3fd15787
	s_mov_b32 s4, 0xacb87a1d
	v_rcp_f64_e32 v[68:69], v[66:67]
	v_fma_f64 v[80:81], -v[66:67], v[68:69], 1.0
	v_fma_f64 v[68:69], v[68:69], v[80:81], v[68:69]
	v_fma_f64 v[80:81], -v[66:67], v[68:69], 1.0
	v_fma_f64 v[68:69], v[68:69], v[80:81], v[68:69]
	v_div_scale_f64 v[80:81], vcc_lo, s[6:7], v[34:35], s[6:7]
	v_mul_f64 v[82:83], v[80:81], v[68:69]
	v_fma_f64 v[66:67], -v[66:67], v[82:83], v[80:81]
	v_div_fmas_f64 v[66:67], v[66:67], v[68:69], v[82:83]
	v_add_f64 v[68:69], v[14:15], s[8:9]
	s_mov_b32 s9, 0x4008afff
	v_div_fixup_f64 v[30:31], v[66:67], v[34:35], s[6:7]
	v_div_scale_f64 v[80:81], null, v[68:69], v[68:69], s[8:9]
	s_mov_b32 s7, 0x3fa391fc
	s_mov_b32 s6, 0x74e7187a
	v_rcp_f64_e32 v[82:83], v[80:81]
	v_fma_f64 v[84:85], -v[80:81], v[82:83], 1.0
	v_fma_f64 v[82:83], v[82:83], v[84:85], v[82:83]
	v_fma_f64 v[84:85], -v[80:81], v[82:83], 1.0
	v_fma_f64 v[82:83], v[82:83], v[84:85], v[82:83]
	v_div_scale_f64 v[84:85], vcc_lo, s[8:9], v[68:69], s[8:9]
	v_mul_f64 v[86:87], v[84:85], v[82:83]
	v_fma_f64 v[80:81], -v[80:81], v[86:87], v[84:85]
	v_div_fmas_f64 v[80:81], v[80:81], v[82:83], v[86:87]
	v_add_f64 v[82:83], v[14:15], s[10:11]
	s_mov_b32 s11, 0x4019a8ae
	v_add_f64 v[14:15], v[14:15], s[16:17]
	s_mov_b32 s17, 0x40279d47
	v_div_fixup_f64 v[34:35], v[80:81], v[68:69], s[8:9]
	v_div_scale_f64 v[84:85], null, v[82:83], v[82:83], s[10:11]
	v_rcp_f64_e32 v[86:87], v[84:85]
	v_fma_f64 v[96:97], -v[84:85], v[86:87], 1.0
	v_fma_f64 v[86:87], v[86:87], v[96:97], v[86:87]
	v_fma_f64 v[96:97], -v[84:85], v[86:87], 1.0
	v_fma_f64 v[86:87], v[86:87], v[96:97], v[86:87]
	v_div_scale_f64 v[96:97], vcc_lo, s[10:11], v[82:83], s[10:11]
	v_mul_f64 v[113:114], v[96:97], v[86:87]
	v_fma_f64 v[84:85], -v[84:85], v[113:114], v[96:97]
	v_div_fmas_f64 v[84:85], v[84:85], v[86:87], v[113:114]
	v_div_scale_f64 v[86:87], null, v[14:15], v[14:15], s[16:17]
	v_div_fixup_f64 v[66:67], v[84:85], v[82:83], s[10:11]
	v_rcp_f64_e32 v[96:97], v[86:87]
	v_fma_f64 v[113:114], -v[86:87], v[96:97], 1.0
	v_fma_f64 v[96:97], v[96:97], v[113:114], v[96:97]
	v_fma_f64 v[113:114], -v[86:87], v[96:97], 1.0
	v_fma_f64 v[96:97], v[96:97], v[113:114], v[96:97]
	v_div_scale_f64 v[113:114], vcc_lo, s[16:17], v[14:15], s[16:17]
	v_mul_f64 v[115:116], v[113:114], v[96:97]
	v_fma_f64 v[86:87], -v[86:87], v[115:116], v[113:114]
	v_div_fmas_f64 v[86:87], v[86:87], v[96:97], v[115:116]
	v_mul_f64 v[96:97], v[70:71], s[4:5]
	s_mov_b32 s5, 0xbfd15787
	v_div_fixup_f64 v[68:69], v[86:87], v[14:15], s[16:17]
	v_fma_f64 v[14:15], v[70:71], s[4:5], v[70:71]
	v_mul_f64 v[86:87], v[70:71], s[6:7]
	s_mov_b32 s7, 0xbfa391fc
	s_mov_b32 s5, 0x3f58d728
	;; [unrolled: 1-line block ×3, first 2 shown]
	v_mul_f64 v[84:85], v[70:71], s[4:5]
	s_mov_b32 s5, 0xbf58d728
	v_fma_f64 v[14:15], v[70:71], s[6:7], v[14:15]
	v_fma_f64 v[14:15], v[70:71], s[4:5], v[14:15]
	s_mov_b32 s5, 0x3ee21487
	s_mov_b32 s4, 0x2c35b4c1
	v_mul_f64 v[82:83], v[70:71], s[4:5]
	s_mov_b32 s5, 0xbee21487
	v_fma_f64 v[80:81], v[70:71], s[4:5], v[14:15]
                                        ; implicit-def: $vgpr14_vgpr15
                                        ; implicit-def: $vgpr70_vgpr71
.LBB0_13:
	s_andn2_saveexec_b32 s10, s14
	s_cbranch_execz .LBB0_15
; %bb.14:
	v_cmp_eq_f64_e32 vcc_lo, 1.0, v[14:15]
	v_frexp_mant_f64_e32 v[30:31], v[14:15]
	v_mov_b32_e32 v18, 0x3ff00000
	s_mov_b32 s5, 0x3fe55555
	s_mov_b32 s4, 0x55555555
	v_frexp_exp_i32_f64_e32 v34, v[14:15]
	s_mov_b32 s6, 0x968915a9
	s_mov_b32 s8, 0x4222de17
	s_mov_b32 s7, 0x3fba6564
	s_mov_b32 s9, 0x3fbdee67
	s_mov_b32 s15, 0x3ff71547
	s_mov_b32 s14, 0x652b82fe
	s_mov_b32 s16, 0xfca7ab0c
	s_mov_b32 s18, 0x6a5dcb37
	s_mov_b32 s17, 0x3e928af3
	s_mov_b32 s19, 0x3e5ade15
	s_mov_b32 s20, 0x623fde64
	s_mov_b32 s21, 0x3ec71dee
	s_mov_b32 s22, 0x7c89e6b0
	s_mov_b32 s23, 0x3efa0199
	s_mov_b32 s24, 0x14761f6e
	s_mov_b32 s25, 0x3f2a01a0
	v_cndmask_b32_e32 v19, 0x40080000, v18, vcc_lo
	v_cmp_gt_f64_e32 vcc_lo, s[4:5], v[30:31]
	v_mov_b32_e32 v18, 0
	s_mov_b32 s26, 0x1852b7b0
	s_mov_b32 s27, 0x3f56c16c
	;; [unrolled: 1-line block ×10, first 2 shown]
	v_cndmask_b32_e64 v35, 0, 1, vcc_lo
	v_subrev_co_ci_u32_e64 v86, null, 0, v34, vcc_lo
	v_ldexp_f64 v[30:31], v[30:31], v35
	v_add_f64 v[66:67], v[30:31], 1.0
	v_add_f64 v[34:35], v[30:31], -1.0
	v_add_f64 v[68:69], v[66:67], -1.0
	v_add_f64 v[30:31], v[30:31], -v[68:69]
	v_rcp_f64_e32 v[68:69], v[66:67]
	v_fma_f64 v[80:81], -v[66:67], v[68:69], 1.0
	v_fma_f64 v[68:69], v[80:81], v[68:69], v[68:69]
	v_fma_f64 v[80:81], -v[66:67], v[68:69], 1.0
	v_fma_f64 v[68:69], v[80:81], v[68:69], v[68:69]
	v_mul_f64 v[80:81], v[34:35], v[68:69]
	v_mul_f64 v[82:83], v[66:67], v[80:81]
	v_fma_f64 v[66:67], v[80:81], v[66:67], -v[82:83]
	v_fma_f64 v[30:31], v[80:81], v[30:31], v[66:67]
	v_add_f64 v[66:67], v[82:83], v[30:31]
	v_add_f64 v[84:85], v[34:35], -v[66:67]
	v_add_f64 v[82:83], v[66:67], -v[82:83]
	;; [unrolled: 1-line block ×4, first 2 shown]
	v_cvt_f64_i32_e32 v[82:83], v86
	v_add_f64 v[34:35], v[34:35], -v[66:67]
	v_add_f64 v[30:31], v[30:31], v[34:35]
	v_add_f64 v[30:31], v[84:85], v[30:31]
	v_mul_f64 v[30:31], v[68:69], v[30:31]
	v_add_f64 v[34:35], v[80:81], v[30:31]
	v_add_f64 v[66:67], v[34:35], -v[80:81]
	v_add_f64 v[30:31], v[30:31], -v[66:67]
	v_mul_f64 v[66:67], v[34:35], v[34:35]
	v_add_f64 v[80:81], v[30:31], v[30:31]
	v_fma_f64 v[68:69], v[34:35], v[34:35], -v[66:67]
	v_ldexp_f64 v[96:97], v[30:31], 1
	v_fma_f64 v[68:69], v[34:35], v[80:81], v[68:69]
	v_add_f64 v[80:81], v[66:67], v[68:69]
	v_add_f64 v[66:67], v[80:81], -v[66:67]
	v_mul_f64 v[113:114], v[34:35], v[80:81]
	v_add_f64 v[66:67], v[68:69], -v[66:67]
	v_fma_f64 v[68:69], v[80:81], s[8:9], s[6:7]
	s_mov_b32 s6, 0x3abe935a
	s_mov_b32 s7, 0x3fbe25e4
	;; [unrolled: 1-line block ×4, first 2 shown]
	v_fma_f64 v[115:116], v[80:81], v[34:35], -v[113:114]
	v_fma_f64 v[68:69], v[80:81], v[68:69], s[6:7]
	s_mov_b32 s6, 0x47e6c9c2
	s_mov_b32 s7, 0x3fc110ef
	v_fma_f64 v[30:31], v[80:81], v[30:31], v[115:116]
	v_fma_f64 v[68:69], v[80:81], v[68:69], s[6:7]
	s_mov_b32 s6, 0xcfa74449
	s_mov_b32 s7, 0x3fc3b13b
	v_fma_f64 v[30:31], v[66:67], v[34:35], v[30:31]
	;; [unrolled: 4-line block ×3, first 2 shown]
	s_mov_b32 s6, 0x1c7792ce
	s_mov_b32 s7, 0x3fcc71c7
	v_fma_f64 v[68:69], v[80:81], v[68:69], s[6:7]
	s_mov_b32 s6, 0x924920da
	s_mov_b32 s7, 0x3fd24924
	v_fma_f64 v[68:69], v[80:81], v[68:69], s[6:7]
	;; [unrolled: 3-line block ×3, first 2 shown]
	s_mov_b32 s7, 0x3fe62e42
	s_mov_b32 s6, 0xfefa39ef
	v_mul_f64 v[84:85], v[82:83], s[6:7]
	v_fma_f64 v[86:87], v[82:83], s[6:7], -v[84:85]
	s_mov_b32 s7, 0xbfe62e42
	v_fma_f64 v[82:83], v[82:83], s[8:9], v[86:87]
	s_mov_b32 s9, 0xbc7abc9e
	v_add_f64 v[86:87], v[84:85], v[82:83]
	v_add_f64 v[84:85], v[86:87], -v[84:85]
	v_add_f64 v[82:83], v[82:83], -v[84:85]
	v_ldexp_f64 v[84:85], v[34:35], 1
	v_add_f64 v[34:35], v[113:114], v[30:31]
	v_add_f64 v[113:114], v[34:35], -v[113:114]
	v_add_f64 v[30:31], v[30:31], -v[113:114]
	v_mul_f64 v[113:114], v[80:81], v[68:69]
	v_fma_f64 v[80:81], v[80:81], v[68:69], -v[113:114]
	v_fma_f64 v[66:67], v[66:67], v[68:69], v[80:81]
	v_add_f64 v[68:69], v[113:114], v[66:67]
	v_add_f64 v[80:81], v[68:69], -v[113:114]
	v_add_f64 v[66:67], v[66:67], -v[80:81]
	v_add_f64 v[80:81], v[68:69], s[4:5]
	s_mov_b32 s5, 0xbfe55555
	v_add_f64 v[113:114], v[80:81], s[4:5]
	s_mov_b32 s4, 0xd5df274d
	s_mov_b32 s5, 0x3c8543b0
	v_add_f64 v[66:67], v[66:67], s[4:5]
	v_add_f64 v[68:69], v[68:69], -v[113:114]
	v_add_f64 v[66:67], v[66:67], v[68:69]
	v_add_f64 v[68:69], v[80:81], v[66:67]
	v_add_f64 v[80:81], v[80:81], -v[68:69]
	v_add_f64 v[66:67], v[66:67], v[80:81]
	v_mul_f64 v[80:81], v[34:35], v[68:69]
	v_fma_f64 v[113:114], v[34:35], v[68:69], -v[80:81]
	v_fma_f64 v[34:35], v[34:35], v[66:67], v[113:114]
	v_fma_f64 v[30:31], v[30:31], v[68:69], v[34:35]
	v_add_f64 v[34:35], v[80:81], v[30:31]
	v_add_f64 v[66:67], v[34:35], -v[80:81]
	v_add_f64 v[30:31], v[30:31], -v[66:67]
	v_add_f64 v[66:67], v[84:85], v[34:35]
	v_add_f64 v[30:31], v[96:97], v[30:31]
	v_add_f64 v[68:69], v[66:67], -v[84:85]
	v_add_f64 v[34:35], v[34:35], -v[68:69]
	v_add_f64 v[30:31], v[30:31], v[34:35]
	;; [unrolled: 4-line block ×3, first 2 shown]
	v_add_f64 v[68:69], v[66:67], -v[86:87]
	v_add_f64 v[80:81], v[66:67], -v[68:69]
	;; [unrolled: 1-line block ×3, first 2 shown]
	v_add_f64 v[68:69], v[82:83], v[30:31]
	v_add_f64 v[80:81], v[86:87], -v[80:81]
	v_add_f64 v[34:35], v[34:35], v[80:81]
	v_add_f64 v[80:81], v[68:69], -v[82:83]
	;; [unrolled: 2-line block ×3, first 2 shown]
	v_add_f64 v[30:31], v[30:31], -v[80:81]
	v_add_f64 v[68:69], v[66:67], v[34:35]
	v_add_f64 v[82:83], v[82:83], -v[84:85]
	v_add_f64 v[66:67], v[68:69], -v[66:67]
	v_add_f64 v[30:31], v[30:31], v[82:83]
	v_add_f64 v[34:35], v[34:35], -v[66:67]
	v_add_f64 v[30:31], v[30:31], v[34:35]
	v_add_f64 v[34:35], v[68:69], v[30:31]
	v_add_f64 v[66:67], v[34:35], -v[68:69]
	v_add_f64 v[30:31], v[30:31], -v[66:67]
	v_mul_f64 v[66:67], v[18:19], v[34:35]
	v_fma_f64 v[34:35], v[18:19], v[34:35], -v[66:67]
	v_cmp_class_f64_e64 vcc_lo, v[66:67], 0x204
	v_fma_f64 v[18:19], v[18:19], v[30:31], v[34:35]
	v_add_f64 v[30:31], v[66:67], v[18:19]
	v_add_f64 v[34:35], v[30:31], -v[66:67]
	v_cndmask_b32_e32 v31, v31, v67, vcc_lo
	v_cndmask_b32_e32 v30, v30, v66, vcc_lo
	v_cmp_neq_f64_e64 vcc_lo, 0x7ff00000, |v[30:31]|
	v_cmp_ngt_f64_e64 s4, 0xc090cc00, v[30:31]
	v_add_f64 v[18:19], v[18:19], -v[34:35]
	v_mul_f64 v[34:35], v[30:31], s[14:15]
	s_mov_b32 s15, 0xbff71547
	v_cndmask_b32_e32 v19, 0, v19, vcc_lo
	v_rndne_f64_e32 v[34:35], v[34:35]
	v_cndmask_b32_e32 v18, 0, v18, vcc_lo
	v_cmp_nlt_f64_e32 vcc_lo, 0x40900000, v[30:31]
	v_fma_f64 v[66:67], v[34:35], s[6:7], v[30:31]
	v_fma_f64 v[66:67], v[34:35], s[8:9], v[66:67]
	v_cvt_i32_f64_e32 v34, v[34:35]
	v_fma_f64 v[68:69], v[66:67], s[18:19], s[16:17]
	v_fma_f64 v[68:69], v[66:67], v[68:69], s[20:21]
	;; [unrolled: 1-line block ×9, first 2 shown]
	v_fma_f64 v[68:69], v[66:67], v[68:69], 1.0
	v_fma_f64 v[66:67], v[66:67], v[68:69], 1.0
	v_ldexp_f64 v[34:35], v[66:67], v34
	v_cndmask_b32_e32 v35, 0x7ff00000, v35, vcc_lo
	s_and_b32 vcc_lo, s4, vcc_lo
	v_cndmask_b32_e32 v30, 0, v34, vcc_lo
	v_cndmask_b32_e64 v31, 0, v35, s4
	s_mov_b32 s4, 0x3eaa0c05
	s_mov_b32 s5, 0x40009589
	v_fma_f64 v[18:19], v[30:31], v[18:19], v[30:31]
	v_cmp_class_f64_e64 vcc_lo, v[30:31], 0x204
	v_cndmask_b32_e32 v81, v19, v31, vcc_lo
	v_cndmask_b32_e32 v80, v18, v30, vcc_lo
	v_mul_f64 v[18:19], v[14:15], s[14:15]
	v_rndne_f64_e32 v[18:19], v[18:19]
	v_fma_f64 v[30:31], v[18:19], s[6:7], -v[14:15]
	s_mov_b32 s6, 0xcaeb734b
	s_mov_b32 s7, 0xbf98f5fb
	v_fma_f64 v[30:31], v[18:19], s[8:9], v[30:31]
	v_cvt_i32_f64_e32 v18, v[18:19]
	v_fma_f64 v[34:35], v[30:31], s[18:19], s[16:17]
	v_fma_f64 v[34:35], v[30:31], v[34:35], s[20:21]
	v_fma_f64 v[34:35], v[30:31], v[34:35], s[22:23]
	v_fma_f64 v[34:35], v[30:31], v[34:35], s[24:25]
	v_fma_f64 v[34:35], v[30:31], v[34:35], s[26:27]
	v_fma_f64 v[34:35], v[30:31], v[34:35], s[28:29]
	v_fma_f64 v[34:35], v[30:31], v[34:35], s[40:41]
	v_fma_f64 v[34:35], v[30:31], v[34:35], s[42:43]
	v_fma_f64 v[34:35], v[30:31], v[34:35], s[44:45]
	v_fma_f64 v[34:35], v[30:31], v[34:35], 1.0
	v_fma_f64 v[30:31], v[30:31], v[34:35], 1.0
	v_ldexp_f64 v[18:19], v[30:31], v18
	v_mul_f64 v[82:83], v[18:19], |v[80:81]|
	v_fma_f64 v[18:19], v[14:15], s[6:7], s[4:5]
	s_mov_b32 s4, 0xc96ff243
	s_mov_b32 s5, 0xc050262b
	;; [unrolled: 1-line block ×4, first 2 shown]
	v_mul_f64 v[80:81], |v[80:81]|, v[82:83]
	v_fma_f64 v[18:19], v[14:15], v[18:19], s[4:5]
	s_mov_b32 s4, 0xdc8f9da2
	s_mov_b32 s5, 0x40865147
	v_fma_f64 v[18:19], v[14:15], v[18:19], s[4:5]
	s_mov_b32 s5, 0xbfbe19cf
	s_mov_b32 s4, 0x34ee1a66
	v_add_f64 v[30:31], v[14:15], s[4:5]
	s_mov_b32 s5, 0x3fbe19cf
	v_div_scale_f64 v[34:35], null, v[30:31], v[30:31], s[4:5]
	v_rcp_f64_e32 v[66:67], v[34:35]
	v_fma_f64 v[68:69], -v[34:35], v[66:67], 1.0
	v_fma_f64 v[66:67], v[66:67], v[68:69], v[66:67]
	v_fma_f64 v[68:69], -v[34:35], v[66:67], 1.0
	v_fma_f64 v[66:67], v[66:67], v[68:69], v[66:67]
	v_div_scale_f64 v[68:69], vcc_lo, s[4:5], v[30:31], s[4:5]
	v_mul_f64 v[84:85], v[68:69], v[66:67]
	v_fma_f64 v[34:35], -v[34:35], v[84:85], v[68:69]
	v_div_fmas_f64 v[34:35], v[34:35], v[66:67], v[84:85]
	v_div_fixup_f64 v[30:31], v[34:35], v[30:31], s[4:5]
	s_mov_b32 s4, 0x2077fa57
	s_mov_b32 s5, 0x403351af
	v_fma_f64 v[18:19], v[18:19], v[82:83], v[30:31]
	v_fma_f64 v[30:31], v[14:15], s[6:7], s[4:5]
	s_mov_b32 s4, 0xa5d22b7d
	s_mov_b32 s5, 0xc082be32
	s_mov_b32 s6, 0xdf16f1a0
	s_mov_b32 s7, 0xbfe63ddf
	v_fma_f64 v[30:31], v[14:15], v[30:31], s[4:5]
	s_mov_b32 s4, 0x102c9863
	s_mov_b32 s5, 0x40b9da71
	v_fma_f64 v[30:31], v[14:15], v[30:31], s[4:5]
	s_mov_b32 s5, 0xbff13167
	s_mov_b32 s4, 0xefcf0c01
	v_add_f64 v[34:35], v[14:15], s[4:5]
	s_mov_b32 s5, 0x3ff13167
	v_div_scale_f64 v[66:67], null, v[34:35], v[34:35], s[4:5]
	v_rcp_f64_e32 v[68:69], v[66:67]
	v_fma_f64 v[84:85], -v[66:67], v[68:69], 1.0
	v_fma_f64 v[68:69], v[68:69], v[84:85], v[68:69]
	v_fma_f64 v[84:85], -v[66:67], v[68:69], 1.0
	v_fma_f64 v[68:69], v[68:69], v[84:85], v[68:69]
	v_div_scale_f64 v[84:85], vcc_lo, s[4:5], v[34:35], s[4:5]
	v_mul_f64 v[86:87], v[84:85], v[68:69]
	v_fma_f64 v[66:67], -v[66:67], v[86:87], v[84:85]
	v_div_fmas_f64 v[66:67], v[66:67], v[68:69], v[86:87]
	v_div_fixup_f64 v[34:35], v[66:67], v[34:35], s[4:5]
	s_mov_b32 s4, 0x4e6da19
	s_mov_b32 s5, 0x404cd7fd
	v_fma_f64 v[30:31], v[30:31], v[82:83], v[34:35]
	v_fma_f64 v[34:35], v[14:15], s[6:7], s[4:5]
	s_mov_b32 s4, 0x6d379456
	s_mov_b32 s5, 0xc09bc42a
	s_mov_b32 s6, 0x89e27eba
	s_mov_b32 s7, 0xbff94aa9
	;; [unrolled: 27-line block ×5, first 2 shown]
	v_fma_f64 v[82:83], v[14:15], v[82:83], s[4:5]
	s_mov_b32 s4, 0x2c35b4c1
	s_mov_b32 s5, 0x3ee21487
	v_mul_f64 v[82:83], v[82:83], v[80:81]
	v_fma_f64 v[82:83], v[70:71], s[4:5], v[82:83]
	s_mov_b32 s4, 0x4f1d383e
	s_mov_b32 s5, 0xbf029fbe
	v_fma_f64 v[84:85], v[14:15], s[6:7], s[4:5]
	s_mov_b32 s4, 0xc17d817a
	s_mov_b32 s5, 0x3f33e01a
	;; [unrolled: 1-line block ×4, first 2 shown]
	v_fma_f64 v[84:85], v[14:15], v[84:85], s[4:5]
	s_mov_b32 s4, 0xef7a4729
	s_mov_b32 s5, 0x3f58d728
	v_mul_f64 v[84:85], v[84:85], v[80:81]
	v_fma_f64 v[84:85], v[70:71], s[4:5], v[84:85]
	s_mov_b32 s4, 0xd6e11677
	s_mov_b32 s5, 0xbf3b7c31
	v_fma_f64 v[86:87], v[14:15], s[6:7], s[4:5]
	s_mov_b32 s4, 0x6dfe45c6
	s_mov_b32 s5, 0x3f6fc2cc
	;; [unrolled: 1-line block ×4, first 2 shown]
	v_fma_f64 v[86:87], v[14:15], v[86:87], s[4:5]
	s_mov_b32 s4, 0x74e7187a
	s_mov_b32 s5, 0x3fa391fc
	v_mul_f64 v[86:87], v[86:87], v[80:81]
	v_fma_f64 v[86:87], v[70:71], s[4:5], v[86:87]
	s_mov_b32 s4, 0xdc6129e2
	s_mov_b32 s5, 0xbf468865
	v_fma_f64 v[96:97], v[14:15], s[6:7], s[4:5]
	s_mov_b32 s4, 0x70387862
	s_mov_b32 s5, 0x3f7b6449
	;; [unrolled: 3-line block ×3, first 2 shown]
	v_mul_f64 v[14:15], v[14:15], v[80:81]
	v_fma_f64 v[96:97], v[70:71], s[4:5], v[14:15]
	v_add_f64 v[14:15], v[70:71], -v[96:97]
	v_add_f64 v[14:15], v[14:15], -v[86:87]
	;; [unrolled: 1-line block ×4, first 2 shown]
.LBB0_15:
	s_or_b32 exec_lo, exec_lo, s10
                                        ; implicit-def: $vgpr14_vgpr15
.LBB0_16:
	s_andn2_saveexec_b32 s8, s13
	s_cbranch_execz .LBB0_18
; %bb.17:
	s_mov_b32 s4, 0x54442d15
	s_mov_b32 s5, 0x3fe921fb
	;; [unrolled: 1-line block ×3, first 2 shown]
	v_div_scale_f64 v[18:19], null, v[14:15], v[14:15], s[4:5]
	s_mov_b32 s7, 0x3e5ade15
	v_rcp_f64_e32 v[30:31], v[18:19]
	v_fma_f64 v[34:35], -v[18:19], v[30:31], 1.0
	v_fma_f64 v[30:31], v[30:31], v[34:35], v[30:31]
	v_fma_f64 v[34:35], -v[18:19], v[30:31], 1.0
	v_fma_f64 v[30:31], v[30:31], v[34:35], v[30:31]
	v_div_scale_f64 v[34:35], vcc_lo, s[4:5], v[14:15], s[4:5]
	v_mul_f64 v[66:67], v[34:35], v[30:31]
	v_fma_f64 v[18:19], -v[18:19], v[66:67], v[34:35]
	v_div_fmas_f64 v[18:19], v[18:19], v[30:31], v[66:67]
	v_div_fixup_f64 v[18:19], v[18:19], v[14:15], s[4:5]
	s_mov_b32 s4, 0x652b82fe
	s_mov_b32 s5, 0xbff71547
	v_cmp_gt_f64_e32 vcc_lo, 0x10000000, v[18:19]
	v_cndmask_b32_e64 v30, 0, 0x100, vcc_lo
	v_ldexp_f64 v[18:19], v[18:19], v30
	v_rsq_f64_e32 v[30:31], v[18:19]
	v_mul_f64 v[34:35], v[18:19], v[30:31]
	v_mul_f64 v[30:31], v[30:31], 0.5
	v_fma_f64 v[66:67], -v[30:31], v[34:35], 0.5
	v_fma_f64 v[34:35], v[34:35], v[66:67], v[34:35]
	v_fma_f64 v[30:31], v[30:31], v[66:67], v[30:31]
	v_fma_f64 v[68:69], -v[34:35], v[34:35], v[18:19]
	v_fma_f64 v[34:35], v[68:69], v[30:31], v[34:35]
	v_fma_f64 v[66:67], -v[34:35], v[34:35], v[18:19]
	v_fma_f64 v[30:31], v[66:67], v[30:31], v[34:35]
	v_cndmask_b32_e64 v34, 0, 0xffffff80, vcc_lo
	v_cmp_class_f64_e64 vcc_lo, v[18:19], 0x260
	v_ldexp_f64 v[30:31], v[30:31], v34
	v_cndmask_b32_e32 v71, v31, v19, vcc_lo
	v_cndmask_b32_e32 v70, v30, v18, vcc_lo
	v_mul_f64 v[18:19], v[14:15], s[4:5]
	s_mov_b32 s4, 0xfefa39ef
	s_mov_b32 s5, 0xbfe62e42
	v_rndne_f64_e32 v[18:19], v[18:19]
	v_fma_f64 v[30:31], v[18:19], s[4:5], -v[14:15]
	s_mov_b32 s4, 0x3b39803f
	s_mov_b32 s5, 0xbc7abc9e
	v_fma_f64 v[30:31], v[18:19], s[4:5], v[30:31]
	s_mov_b32 s4, 0xfca7ab0c
	s_mov_b32 s5, 0x3e928af3
	v_cvt_i32_f64_e32 v18, v[18:19]
	v_fma_f64 v[34:35], v[30:31], s[6:7], s[4:5]
	s_mov_b32 s4, 0x623fde64
	s_mov_b32 s5, 0x3ec71dee
	;; [unrolled: 1-line block ×4, first 2 shown]
	v_fma_f64 v[34:35], v[30:31], v[34:35], s[4:5]
	s_mov_b32 s4, 0x7c89e6b0
	s_mov_b32 s5, 0x3efa0199
	v_fma_f64 v[34:35], v[30:31], v[34:35], s[4:5]
	s_mov_b32 s4, 0x14761f6e
	s_mov_b32 s5, 0x3f2a01a0
	;; [unrolled: 3-line block ×8, first 2 shown]
	v_fma_f64 v[34:35], v[30:31], v[34:35], 1.0
	v_fma_f64 v[30:31], v[30:31], v[34:35], 1.0
	v_ldexp_f64 v[80:81], v[30:31], v18
	v_fma_f64 v[18:19], v[14:15], s[6:7], s[4:5]
	s_mov_b32 s4, 0xb75c6a7d
	s_mov_b32 s5, 0xbf90538f
	s_mov_b32 s6, 0x4b993860
	s_mov_b32 s7, 0xbef0c9b8
	v_fma_f64 v[18:19], v[14:15], v[18:19], s[4:5]
	s_mov_b32 s4, 0x23a9e0cf
	s_mov_b32 s5, 0x3ff227a5
	v_fma_f64 v[18:19], v[14:15], v[18:19], s[4:5]
	s_mov_b32 s4, 0xe6225023
	s_mov_b32 s5, 0xc0465c5e
	v_fma_f64 v[18:19], v[14:15], v[18:19], s[4:5]
	s_mov_b32 s4, 0x7546e5d8
	s_mov_b32 s5, 0x40909a0c
	v_fma_f64 v[18:19], v[14:15], v[18:19], s[4:5]
	s_mov_b32 s4, 0x247745c1
	s_mov_b32 s5, 0xc0cdb3b2
	v_fma_f64 v[18:19], v[14:15], v[18:19], s[4:5]
	s_mov_b32 s4, 0x319b9717
	s_mov_b32 s5, 0x40fd756e
	v_fma_f64 v[18:19], v[14:15], v[18:19], s[4:5]
	s_mov_b32 s4, 0x77a82cda
	s_mov_b32 s5, 0xc118da49
	v_fma_f64 v[18:19], v[14:15], v[18:19], s[4:5]
	s_mov_b32 s5, 0xbfbe19cf
	s_mov_b32 s4, 0x34ee1a66
	v_add_f64 v[30:31], v[14:15], s[4:5]
	s_mov_b32 s5, 0x3fbe19cf
	v_div_scale_f64 v[34:35], null, v[30:31], v[30:31], s[4:5]
	v_rcp_f64_e32 v[66:67], v[34:35]
	v_fma_f64 v[68:69], -v[34:35], v[66:67], 1.0
	v_fma_f64 v[66:67], v[66:67], v[68:69], v[66:67]
	v_fma_f64 v[68:69], -v[34:35], v[66:67], 1.0
	v_fma_f64 v[66:67], v[66:67], v[68:69], v[66:67]
	v_div_scale_f64 v[68:69], vcc_lo, s[4:5], v[30:31], s[4:5]
	v_mul_f64 v[82:83], v[68:69], v[66:67]
	v_fma_f64 v[34:35], -v[34:35], v[82:83], v[68:69]
	v_div_fmas_f64 v[34:35], v[34:35], v[66:67], v[82:83]
	v_div_fixup_f64 v[30:31], v[34:35], v[30:31], s[4:5]
	s_mov_b32 s4, 0xe7ffdbf2
	s_mov_b32 s5, 0x3f5213a0
	v_fma_f64 v[18:19], v[18:19], v[80:81], v[30:31]
	v_fma_f64 v[30:31], v[14:15], s[6:7], s[4:5]
	s_mov_b32 s4, 0x77e55c8b
	s_mov_b32 s5, 0xbfc334a1
	s_mov_b32 s6, 0xbd76181
	s_mov_b32 s7, 0xbf0788c4
	v_fma_f64 v[30:31], v[14:15], v[30:31], s[4:5]
	s_mov_b32 s4, 0xc0e94c48
	s_mov_b32 s5, 0x40251cdb
	v_fma_f64 v[30:31], v[14:15], v[30:31], s[4:5]
	s_mov_b32 s4, 0x4647d599
	s_mov_b32 s5, 0xc079a780
	v_fma_f64 v[30:31], v[14:15], v[30:31], s[4:5]
	s_mov_b32 s4, 0xa73371c0
	s_mov_b32 s5, 0x40c2cd05
	v_fma_f64 v[30:31], v[14:15], v[30:31], s[4:5]
	s_mov_b32 s4, 0x8f075ded
	s_mov_b32 s5, 0xc1009680
	v_fma_f64 v[30:31], v[14:15], v[30:31], s[4:5]
	s_mov_b32 s4, 0xc537d8b4
	s_mov_b32 s5, 0x413030d3
	v_fma_f64 v[30:31], v[14:15], v[30:31], s[4:5]
	s_mov_b32 s4, 0xf6cdfc62
	s_mov_b32 s5, 0xc14acb31
	v_fma_f64 v[30:31], v[14:15], v[30:31], s[4:5]
	s_mov_b32 s5, 0xbff13167
	s_mov_b32 s4, 0xefcf0c01
	v_add_f64 v[34:35], v[14:15], s[4:5]
	s_mov_b32 s5, 0x3ff13167
	v_div_scale_f64 v[66:67], null, v[34:35], v[34:35], s[4:5]
	v_rcp_f64_e32 v[68:69], v[66:67]
	v_fma_f64 v[82:83], -v[66:67], v[68:69], 1.0
	v_fma_f64 v[68:69], v[68:69], v[82:83], v[68:69]
	v_fma_f64 v[82:83], -v[66:67], v[68:69], 1.0
	v_fma_f64 v[68:69], v[68:69], v[82:83], v[68:69]
	v_div_scale_f64 v[82:83], vcc_lo, s[4:5], v[34:35], s[4:5]
	v_mul_f64 v[84:85], v[82:83], v[68:69]
	v_fma_f64 v[66:67], -v[66:67], v[84:85], v[82:83]
	v_div_fmas_f64 v[66:67], v[66:67], v[68:69], v[84:85]
	v_div_fixup_f64 v[34:35], v[66:67], v[34:35], s[4:5]
	s_mov_b32 s4, 0x92ad76d8
	s_mov_b32 s5, 0x3f6609dd
	v_fma_f64 v[30:31], v[30:31], v[80:81], v[34:35]
	;; [unrolled: 42-line block ×5, first 2 shown]
	v_fma_f64 v[82:83], v[14:15], s[6:7], s[4:5]
	s_mov_b32 s4, 0xd4d3dfad
	s_mov_b32 s5, 0xbef1314a
	s_mov_b32 s6, 0x63c0feb6
	s_mov_b32 s7, 0xbe59db0b
	v_fma_f64 v[82:83], v[14:15], v[82:83], s[4:5]
	s_mov_b32 s4, 0xe39df11
	s_mov_b32 s5, 0x3f52f8a2
	v_fma_f64 v[82:83], v[14:15], v[82:83], s[4:5]
	s_mov_b32 s4, 0x2a257d3e
	s_mov_b32 s5, 0xbfab2a55
	;; [unrolled: 3-line block ×8, first 2 shown]
	v_mul_f64 v[82:83], v[80:81], v[82:83]
	v_fma_f64 v[82:83], v[70:71], s[4:5], v[82:83]
	s_mov_b32 s4, 0xb73411fd
	s_mov_b32 s5, 0x3ee10aba
	v_fma_f64 v[84:85], v[14:15], s[6:7], s[4:5]
	s_mov_b32 s4, 0x8ebd8bfc
	s_mov_b32 s5, 0xbf4da36c
	;; [unrolled: 1-line block ×4, first 2 shown]
	v_fma_f64 v[84:85], v[14:15], v[84:85], s[4:5]
	s_mov_b32 s4, 0x34e75a00
	s_mov_b32 s5, 0x3fb05324
	v_fma_f64 v[84:85], v[14:15], v[84:85], s[4:5]
	s_mov_b32 s4, 0xf48ba53e
	s_mov_b32 s5, 0xc007b0db
	;; [unrolled: 3-line block ×8, first 2 shown]
	v_mul_f64 v[84:85], v[80:81], v[84:85]
	v_fma_f64 v[84:85], v[70:71], s[4:5], v[84:85]
	s_mov_b32 s4, 0x9b04194
	s_mov_b32 s5, 0xbf595e60
	v_fma_f64 v[86:87], v[14:15], s[6:7], s[4:5]
	s_mov_b32 s4, 0x40992d0d
	s_mov_b32 s5, 0x3fbe575b
	;; [unrolled: 1-line block ×4, first 2 shown]
	v_fma_f64 v[86:87], v[14:15], v[86:87], s[4:5]
	s_mov_b32 s4, 0x3f3b9825
	s_mov_b32 s5, 0xc01ac937
	v_fma_f64 v[86:87], v[14:15], v[86:87], s[4:5]
	s_mov_b32 s4, 0xa7735e56
	s_mov_b32 s5, 0x406e9942
	;; [unrolled: 3-line block ×7, first 2 shown]
	v_mul_f64 v[86:87], v[86:87], v[80:81]
	v_fma_f64 v[86:87], v[70:71], s[4:5], v[86:87]
	s_mov_b32 s4, 0x643c4348
	s_mov_b32 s5, 0xbf624130
	v_fma_f64 v[96:97], v[14:15], s[6:7], s[4:5]
	s_mov_b32 s4, 0x1ff2843f
	s_mov_b32 s5, 0x3fc49e31
	v_fma_f64 v[96:97], v[14:15], v[96:97], s[4:5]
	s_mov_b32 s4, 0xf597947f
	s_mov_b32 s5, 0xc021ef53
	v_fma_f64 v[96:97], v[14:15], v[96:97], s[4:5]
	s_mov_b32 s4, 0xc4642ea8
	s_mov_b32 s5, 0x40748100
	v_fma_f64 v[96:97], v[14:15], v[96:97], s[4:5]
	s_mov_b32 s4, 0x1d78a3c4
	s_mov_b32 s5, 0xc0bde93a
	v_fma_f64 v[96:97], v[14:15], v[96:97], s[4:5]
	s_mov_b32 s4, 0xe15a33b9
	s_mov_b32 s5, 0x40faeaf0
	v_fma_f64 v[96:97], v[14:15], v[96:97], s[4:5]
	s_mov_b32 s4, 0x3e9387ff
	s_mov_b32 s5, 0xc12b3ce0
	v_fma_f64 v[96:97], v[14:15], v[96:97], s[4:5]
	s_mov_b32 s4, 0x23834483
	s_mov_b32 s5, 0x4147b329
	v_fma_f64 v[14:15], v[14:15], v[96:97], s[4:5]
	s_mov_b32 s4, 0xacb87a1d
	s_mov_b32 s5, 0x3fd15787
	v_mul_f64 v[14:15], v[14:15], v[80:81]
	v_fma_f64 v[96:97], v[70:71], s[4:5], v[14:15]
	s_mov_b32 s4, 0xe963dc48
	s_mov_b32 s5, 0xbf941743
	v_fma_f64 v[14:15], v[80:81], s[4:5], v[70:71]
	v_add_f64 v[14:15], v[14:15], -v[96:97]
	v_add_f64 v[14:15], v[14:15], -v[86:87]
	;; [unrolled: 1-line block ×4, first 2 shown]
.LBB0_18:
	s_or_b32 exec_lo, exec_lo, s8
                                        ; implicit-def: $vgpr14_vgpr15
.LBB0_19:
	s_andn2_saveexec_b32 vcc_lo, s12
	s_cbranch_execz .LBB0_21
; %bb.20:
	v_add_f64 v[14:15], 0xc0368000, v[14:15]
	s_mov_b32 s4, 0xb86de6a5
	s_mov_b32 s8, 0x7efc761d
	;; [unrolled: 1-line block ×21, first 2 shown]
	v_fma_f64 v[18:19], v[14:15], s[8:9], s[4:5]
	v_fma_f64 v[30:31], v[14:15], s[20:21], s[12:13]
	s_mov_b32 s43, 0xbd878b66
	s_mov_b32 s75, 0xbdbe0376
	;; [unrolled: 1-line block ×9, first 2 shown]
	v_fma_f64 v[68:69], v[14:15], s[52:53], s[50:51]
	s_mov_b32 s26, 0xd441c9e5
	s_mov_b32 s62, 0x4f2881d6
	;; [unrolled: 1-line block ×10, first 2 shown]
	v_fma_f64 v[66:67], v[14:15], v[18:19], s[44:45]
	v_fma_f64 v[18:19], v[14:15], v[30:31], s[22:23]
	s_mov_b32 s44, 0x67ef8a26
	s_mov_b32 s45, 0xbd2b8d46
	;; [unrolled: 1-line block ×3, first 2 shown]
	v_fma_f64 v[34:35], v[14:15], s[58:59], s[44:45]
	v_fma_f64 v[70:71], v[14:15], s[90:91], s[88:89]
	s_mov_b32 s49, 0x3d725fe5
	s_mov_b32 s90, 0xd6a677e
	;; [unrolled: 1-line block ×4, first 2 shown]
	v_fma_f64 v[68:69], v[14:15], v[68:69], s[90:91]
	s_mov_b32 s76, 0x978c36f2
	s_mov_b32 s19, 0x3deddc52
	;; [unrolled: 1-line block ×10, first 2 shown]
	v_fma_f64 v[30:31], v[14:15], v[66:67], s[28:29]
	v_fma_f64 v[66:67], v[14:15], s[94:95], s[92:93]
	;; [unrolled: 1-line block ×3, first 2 shown]
	s_mov_b32 s92, 0x6bb399b6
	s_mov_b32 s93, 0xbd6a77db
	v_fma_f64 v[34:35], v[14:15], v[34:35], s[78:79]
	v_fma_f64 v[70:71], v[14:15], v[70:71], s[92:93]
	s_mov_b32 s94, 0xbc17fdfa
	s_mov_b32 s11, 0x3e2e99d8
	;; [unrolled: 1-line block ×15, first 2 shown]
	v_fma_f64 v[30:31], v[14:15], v[30:31], s[74:75]
	v_fma_f64 v[66:67], v[14:15], v[66:67], s[54:55]
	;; [unrolled: 1-line block ×3, first 2 shown]
	s_mov_b32 s74, 0x9a7273af
	s_mov_b32 s75, 0xbe21c93e
	v_fma_f64 v[34:35], v[14:15], v[34:35], s[76:77]
	s_mov_b32 s76, 0x3167b143
	s_mov_b32 s77, 0x3d3c4563
	v_fma_f64 v[70:71], v[14:15], v[70:71], s[94:95]
	v_fma_f64 v[82:83], v[14:15], s[88:89], s[76:77]
	s_mov_b32 s42, 0x7ba9b9cb
	s_mov_b32 s9, 0xbf2e439c
	;; [unrolled: 1-line block ×12, first 2 shown]
	v_fma_f64 v[30:31], v[14:15], v[30:31], s[62:63]
	s_mov_b32 s62, 0xf3bd5140
	s_mov_b32 s63, 0xbd311648
	v_fma_f64 v[18:19], v[14:15], v[18:19], s[18:19]
	v_fma_f64 v[80:81], v[14:15], s[62:63], s[48:49]
	s_mov_b32 s48, 0x6e6a47a8
	s_mov_b32 s49, 0x3c835b00
	s_mov_b32 s62, 0x8bd3c013
	v_fma_f64 v[66:67], v[14:15], v[66:67], s[48:49]
	s_mov_b32 s63, 0xbd5e2a15
	s_mov_b32 s18, 0xbc89c281
	;; [unrolled: 1-line block ×3, first 2 shown]
	v_fma_f64 v[34:35], v[14:15], v[34:35], s[72:73]
	v_fma_f64 v[84:85], v[14:15], s[18:19], s[90:91]
	s_mov_b32 s18, 0xaed5533c
	s_mov_b32 s19, 0xbd033347
	v_fma_f64 v[70:71], v[14:15], v[70:71], s[78:79]
	v_fma_f64 v[68:69], v[14:15], v[68:69], s[18:19]
	s_mov_b32 s18, 0x30d50373
	s_mov_b32 s19, 0xbdf21661
	;; [unrolled: 1-line block ×4, first 2 shown]
	v_fma_f64 v[30:31], v[14:15], v[30:31], s[56:57]
	s_mov_b32 s56, 0x3d4a79ba
	s_mov_b32 s57, 0xbd2cd033
	v_fma_f64 v[18:19], v[14:15], v[18:19], s[10:11]
	v_fma_f64 v[80:81], v[14:15], v[80:81], s[62:63]
	s_mov_b32 s62, 0x4ecd6f7c
	s_mov_b32 s63, 0x3cf1fd6e
	;; [unrolled: 1-line block ×3, first 2 shown]
	v_fma_f64 v[86:87], v[14:15], s[62:63], s[56:57]
	s_mov_b32 s56, 0x719e141e
	s_mov_b32 s57, 0xbcc154b4
	;; [unrolled: 1-line block ×3, first 2 shown]
	v_fma_f64 v[66:67], v[14:15], v[66:67], s[56:57]
	v_fma_f64 v[82:83], v[14:15], v[82:83], s[10:11]
	s_mov_b32 s10, 0x4b9335f4
	s_mov_b32 s11, 0xbd50991e
	v_fma_f64 v[34:35], v[14:15], v[34:35], s[60:61]
	v_fma_f64 v[84:85], v[14:15], v[84:85], s[10:11]
	s_mov_b32 s10, 0x67a2f4b7
	s_mov_b32 s11, 0x3d2b2bea
	;; [unrolled: 4-line block ×3, first 2 shown]
	v_fma_f64 v[30:31], v[14:15], v[30:31], s[40:41]
	v_fma_f64 v[18:19], v[14:15], v[18:19], s[6:7]
	;; [unrolled: 1-line block ×3, first 2 shown]
	s_mov_b32 s18, 0x25e98841
	s_mov_b32 s19, 0xbd2767b9
	;; [unrolled: 1-line block ×3, first 2 shown]
	v_fma_f64 v[86:87], v[14:15], v[86:87], s[18:19]
	s_mov_b32 s18, 0xe6b400c6
	s_mov_b32 s19, 0x3cf841fe
	;; [unrolled: 1-line block ×3, first 2 shown]
	v_fma_f64 v[66:67], v[14:15], v[66:67], s[18:19]
	v_fma_f64 v[82:83], v[14:15], v[82:83], s[6:7]
	s_mov_b32 s6, 0xa4c657e5
	s_mov_b32 s7, 0x3da22ab6
	v_fma_f64 v[34:35], v[14:15], v[34:35], s[46:47]
	v_fma_f64 v[84:85], v[14:15], v[84:85], s[6:7]
	s_mov_b32 s6, 0x30627499
	s_mov_b32 s7, 0xbd57e4dd
	;; [unrolled: 4-line block ×3, first 2 shown]
	s_mov_b32 s24, 0xdcffb936
	v_fma_f64 v[18:19], v[14:15], v[18:19], s[14:15]
	v_fma_f64 v[80:81], v[14:15], v[80:81], s[10:11]
	s_mov_b32 s10, 0x27b86fcc
	s_mov_b32 s11, 0x3d92894c
	;; [unrolled: 1-line block ×3, first 2 shown]
	v_fma_f64 v[86:87], v[14:15], v[86:87], s[10:11]
	s_mov_b32 s10, 0x7cfbbab2
	s_mov_b32 s11, 0xbd313868
	v_fma_f64 v[30:31], v[14:15], v[30:31], s[24:25]
	v_fma_f64 v[66:67], v[14:15], v[66:67], s[10:11]
	s_mov_b32 s10, 0x5b6bc27e
	s_mov_b32 s11, 0x3de454e6
	;; [unrolled: 1-line block ×3, first 2 shown]
	v_fma_f64 v[82:83], v[14:15], v[82:83], s[10:11]
	s_mov_b32 s10, 0x6634dbdc
	s_mov_b32 s11, 0x3dd26ea2
	v_fma_f64 v[34:35], v[14:15], v[34:35], s[58:59]
	v_fma_f64 v[70:71], v[14:15], v[70:71], s[26:27]
	s_mov_b32 s29, 0x3f38caab
	s_mov_b32 s16, 0x2c973c21
	s_mov_b32 s17, 0x3f19cfc6
	s_mov_b32 s22, 0xe2bae2a0
	v_fma_f64 v[18:19], v[14:15], v[18:19], s[8:9]
	v_fma_f64 v[80:81], v[14:15], v[80:81], s[6:7]
	s_mov_b32 s6, 0x16143f9e
	s_mov_b32 s7, 0x3dd95ec9
	;; [unrolled: 1-line block ×3, first 2 shown]
	v_fma_f64 v[84:85], v[14:15], v[84:85], s[6:7]
	v_fma_f64 v[86:87], v[14:15], v[86:87], s[10:11]
	s_mov_b32 s6, 0xe10e5e5a
	s_mov_b32 s10, 0x72dcc640
	;; [unrolled: 1-line block ×4, first 2 shown]
	v_fma_f64 v[68:69], v[14:15], v[68:69], s[6:7]
	v_fma_f64 v[66:67], v[14:15], v[66:67], s[10:11]
	s_mov_b32 s6, 0x43660cd8
	s_mov_b32 s7, 0xbeb1ebc7
	;; [unrolled: 1-line block ×3, first 2 shown]
	v_fma_f64 v[34:35], v[14:15], v[34:35], s[44:45]
	v_fma_f64 v[82:83], v[14:15], v[82:83], s[8:9]
	s_mov_b32 s8, 0x4c510ac2
	s_mov_b32 s9, 0xbe2cde9e
	v_fma_f64 v[30:31], v[14:15], v[30:31], s[16:17]
	s_mov_b32 s23, 0xbf8072ba
	v_fma_f64 v[18:19], v[14:15], v[18:19], s[4:5]
	v_fma_f64 v[80:81], v[14:15], v[80:81], s[6:7]
	s_mov_b32 s6, 0x9a0e00f9
	s_mov_b32 s7, 0xbe38666c
	;; [unrolled: 1-line block ×3, first 2 shown]
	v_fma_f64 v[84:85], v[14:15], v[84:85], s[6:7]
	v_fma_f64 v[86:87], v[14:15], v[86:87], s[8:9]
	s_mov_b32 s6, 0x5c6f499e
	s_mov_b32 s8, 0xb0e73ddd
	;; [unrolled: 1-line block ×4, first 2 shown]
	v_fma_f64 v[68:69], v[14:15], v[68:69], s[6:7]
	v_fma_f64 v[66:67], v[14:15], v[66:67], s[8:9]
	s_mov_b32 s6, 0x52d5c9a1
	s_mov_b32 s7, 0x3f0142c3
	;; [unrolled: 1-line block ×3, first 2 shown]
	v_fma_f64 v[34:35], v[14:15], v[34:35], s[28:29]
	v_fma_f64 v[82:83], v[14:15], v[82:83], s[4:5]
	s_mov_b32 s4, 0xec70f4a3
	s_mov_b32 s5, 0x3e80704e
	;; [unrolled: 1-line block ×5, first 2 shown]
	v_fma_f64 v[80:81], v[14:15], v[80:81], s[6:7]
	s_mov_b32 s6, 0xbba83240
	s_mov_b32 s7, 0x3e704e63
	;; [unrolled: 1-line block ×3, first 2 shown]
	v_fma_f64 v[84:85], v[14:15], v[84:85], s[4:5]
	v_fma_f64 v[86:87], v[14:15], v[86:87], s[6:7]
	s_mov_b32 s4, 0x93de7c00
	s_mov_b32 s6, 0x11e2969a
	;; [unrolled: 1-line block ×4, first 2 shown]
	v_fma_f64 v[68:69], v[14:15], v[68:69], s[4:5]
	v_fma_f64 v[66:67], v[14:15], v[66:67], s[6:7]
	s_mov_b32 s4, 0x454c7bdd
	s_mov_b32 s5, 0xbf10b65b
	;; [unrolled: 1-line block ×3, first 2 shown]
	v_fma_f64 v[70:71], v[14:15], v[70:71], s[4:5]
	s_mov_b32 s4, 0xc7730a83
	s_mov_b32 s5, 0xbf437d96
	;; [unrolled: 1-line block ×3, first 2 shown]
	v_fma_f64 v[34:35], v[14:15], v[34:35], s[22:23]
	v_fma_f64 v[82:83], v[14:15], v[82:83], s[6:7]
	s_mov_b32 s6, 0x2780ce62
	v_fma_f64 v[80:81], v[14:15], v[80:81], s[4:5]
	s_mov_b32 s4, 0x8f11dfa7
	s_mov_b32 s5, 0xbec1c6f0
	s_mov_b32 s7, 0xbea8dae0
	v_fma_f64 v[84:85], v[14:15], v[84:85], s[4:5]
	v_fma_f64 v[86:87], v[14:15], v[86:87], s[6:7]
	s_mov_b32 s4, 0x3b36af62
	s_mov_b32 s6, 0xd9394090
	;; [unrolled: 1-line block ×4, first 2 shown]
	v_fma_f64 v[68:69], v[14:15], v[68:69], s[4:5]
	v_fma_f64 v[66:67], v[14:15], v[66:67], s[6:7]
	s_mov_b32 s4, 0x1ec3588e
	s_mov_b32 s5, 0x3f56699e
	v_fma_f64 v[30:31], v[14:15], v[30:31], s[20:21]
	v_fma_f64 v[70:71], v[14:15], v[70:71], s[4:5]
	s_mov_b32 s4, 0xe734c97f
	s_mov_b32 s5, 0x3f80fc59
	;; [unrolled: 1-line block ×4, first 2 shown]
	v_fma_f64 v[82:83], v[14:15], v[82:83], s[8:9]
	s_mov_b32 s8, 0xc0873820
	v_fma_f64 v[80:81], v[14:15], v[80:81], s[4:5]
	s_mov_b32 s4, 0xcef0727c
	s_mov_b32 s5, 0x3f063587
	;; [unrolled: 1-line block ×3, first 2 shown]
	v_fma_f64 v[84:85], v[14:15], v[84:85], s[4:5]
	v_fma_f64 v[86:87], v[14:15], v[86:87], s[8:9]
	s_mov_b32 s4, 0x531399e0
	s_mov_b32 s8, 0x7be0e600
	;; [unrolled: 1-line block ×4, first 2 shown]
	v_fma_f64 v[68:69], v[14:15], v[68:69], s[4:5]
	v_fma_f64 v[66:67], v[14:15], v[66:67], s[8:9]
	s_mov_b32 s4, 0x9dc21986
	s_mov_b32 s5, 0xbf98c939
	;; [unrolled: 1-line block ×3, first 2 shown]
	v_fma_f64 v[70:71], v[14:15], v[70:71], s[4:5]
	s_mov_b32 s4, 0x15ba9822
	s_mov_b32 s5, 0xbfb96c87
	s_mov_b32 s9, 0xbf67290a
	v_fma_f64 v[34:35], v[14:15], v[34:35], s[6:7]
	v_fma_f64 v[82:83], v[14:15], v[82:83], s[8:9]
	s_mov_b32 s8, 0xe2d54a21
	v_fma_f64 v[80:81], v[14:15], v[80:81], s[4:5]
	s_mov_b32 s4, 0x61811cb3
	s_mov_b32 s5, 0xbf52bf44
	;; [unrolled: 1-line block ×3, first 2 shown]
	v_fma_f64 v[84:85], v[14:15], v[84:85], s[4:5]
	v_fma_f64 v[86:87], v[14:15], v[86:87], s[8:9]
	s_mov_b32 s4, 0xc0badfe0
	s_mov_b32 s8, 0x8fd3701f
	;; [unrolled: 1-line block ×4, first 2 shown]
	v_fma_f64 v[113:114], v[14:15], v[68:69], s[4:5]
	v_fma_f64 v[115:116], v[14:15], v[66:67], s[8:9]
	s_mov_b32 s4, 0xf75de41c
	s_mov_b32 s5, 0x3fd97653
	;; [unrolled: 1-line block ×3, first 2 shown]
	v_fma_f64 v[66:67], v[14:15], v[70:71], s[4:5]
	s_mov_b32 s4, 0x93255247
	s_mov_b32 s5, 0x3ff193c6
	;; [unrolled: 1-line block ×5, first 2 shown]
	v_readlane_b32 s90, v124, 0
	v_fma_f64 v[68:69], v[14:15], v[80:81], s[4:5]
	v_fma_f64 v[80:81], v[14:15], v[82:83], s[6:7]
	s_mov_b32 s4, 0xdc9daee7
	s_mov_b32 s6, 0x5a6fd842
	;; [unrolled: 1-line block ×4, first 2 shown]
	v_fma_f64 v[96:97], v[14:15], v[84:85], s[4:5]
	v_fma_f64 v[86:87], v[14:15], v[86:87], s[6:7]
	s_mov_b32 s4, 0x8ae17282
	s_mov_b32 s6, 0xe24002e5
	;; [unrolled: 1-line block ×4, first 2 shown]
	v_fma_f64 v[30:31], v[14:15], v[30:31], s[12:13]
	v_fma_f64 v[84:85], v[14:15], v[113:114], s[4:5]
	;; [unrolled: 1-line block ×3, first 2 shown]
	v_readlane_b32 s62, v124, 6
	v_readlane_b32 s56, v124, 4
	;; [unrolled: 1-line block ×7, first 2 shown]
.LBB0_21:
	s_or_b32 exec_lo, exec_lo, vcc_lo
                                        ; implicit-def: $vgpr14_vgpr15
.LBB0_22:
	s_andn2_saveexec_b32 s92, s39
	s_cbranch_execz .LBB0_24
; %bb.23:
	v_add_f64 v[14:15], 0xc0318000, v[14:15]
	s_mov_b32 s4, 0xd2b66658
	s_mov_b32 s6, 0x5bd5d537
	;; [unrolled: 1-line block ×21, first 2 shown]
	v_fma_f64 v[18:19], v[14:15], s[6:7], s[4:5]
	v_fma_f64 v[30:31], v[14:15], s[18:19], s[14:15]
	s_mov_b32 s18, 0x592d939d
	s_mov_b32 s19, 0xbd57d287
	v_fma_f64 v[66:67], v[14:15], s[90:91], s[88:89]
	s_mov_b32 s43, 0x3d92cd6c
	s_mov_b32 s45, 0x3d30e6cd
	;; [unrolled: 1-line block ×4, first 2 shown]
	v_fma_f64 v[34:35], v[14:15], s[56:57], s[44:45]
	s_mov_b32 s75, 0x3dc8e3c6
	s_mov_b32 s52, 0xcefeb36e
	;; [unrolled: 1-line block ×12, first 2 shown]
	v_fma_f64 v[18:19], v[14:15], v[18:19], s[10:11]
	v_fma_f64 v[30:31], v[14:15], v[30:31], s[18:19]
	s_mov_b32 s54, 0x1810027c
	v_fma_f64 v[68:69], v[14:15], s[90:91], s[94:95]
	v_fma_f64 v[66:67], v[14:15], v[66:67], s[52:53]
	s_mov_b32 s52, 0x55bc102d
	s_mov_b32 s61, 0x3dfa7b72
	;; [unrolled: 1-line block ×4, first 2 shown]
	v_fma_f64 v[34:35], v[14:15], v[34:35], s[78:79]
	v_fma_f64 v[70:71], v[14:15], s[52:53], s[54:55]
	s_mov_b32 s90, 0xb9cf679d
	s_mov_b32 s94, 0x57d970c0
	;; [unrolled: 1-line block ×6, first 2 shown]
	v_fma_f64 v[80:81], v[14:15], s[94:95], s[90:91]
	s_mov_b32 s16, 0x4fb7934c
	s_mov_b32 s76, 0x76fdbc54
	;; [unrolled: 1-line block ×4, first 2 shown]
	v_fma_f64 v[18:19], v[14:15], v[18:19], s[12:13]
	v_fma_f64 v[30:31], v[14:15], v[30:31], s[26:27]
	s_mov_b32 s77, 0xbda67225
	s_mov_b32 s49, 0x3d611900
	v_fma_f64 v[66:67], v[14:15], v[66:67], s[52:53]
	s_mov_b32 s46, 0x5260e07d
	v_fma_f64 v[68:69], v[14:15], v[68:69], s[48:49]
	s_mov_b32 s47, 0xbe497072
	s_mov_b32 s90, 0xa23d859
	v_fma_f64 v[34:35], v[14:15], v[34:35], s[76:77]
	s_mov_b32 s76, 0xf1892add
	s_mov_b32 s77, 0x3cdf7f29
	;; [unrolled: 1-line block ×12, first 2 shown]
	v_fma_f64 v[18:19], v[14:15], v[18:19], s[42:43]
	v_fma_f64 v[30:31], v[14:15], v[30:31], s[74:75]
	s_mov_b32 s72, 0x4a7511bb
	s_mov_b32 s78, 0xa8ec6542
	;; [unrolled: 1-line block ×4, first 2 shown]
	v_fma_f64 v[68:69], v[14:15], v[68:69], s[50:51]
	s_mov_b32 s79, 0x3e08b548
	s_mov_b32 s6, 0xb10c3b61
	v_fma_f64 v[34:35], v[14:15], v[34:35], s[72:73]
	s_mov_b32 s58, 0x98dec988
	s_mov_b32 s74, 0x1285a064
	;; [unrolled: 1-line block ×12, first 2 shown]
	v_fma_f64 v[18:19], v[14:15], v[18:19], s[22:23]
	v_fma_f64 v[30:31], v[14:15], v[30:31], s[60:61]
	s_mov_b32 s22, 0x61ce1b52
	s_mov_b32 s60, 0xd07f41a4
	;; [unrolled: 1-line block ×4, first 2 shown]
	v_fma_f64 v[70:71], v[14:15], v[70:71], s[22:23]
	v_fma_f64 v[82:83], v[14:15], s[76:77], s[60:61]
	s_mov_b32 s22, 0x744f3bc
	s_mov_b32 s23, 0x3cfe149e
	v_fma_f64 v[68:69], v[14:15], v[68:69], s[88:89]
	v_fma_f64 v[34:35], v[14:15], v[34:35], s[58:59]
	s_mov_b32 s57, 0x3ea3ad19
	s_mov_b32 s28, 0xe210b0b1
	;; [unrolled: 1-line block ×10, first 2 shown]
	v_fma_f64 v[18:19], v[14:15], v[18:19], s[16:17]
	v_fma_f64 v[30:31], v[14:15], v[30:31], s[46:47]
	s_mov_b32 s16, 0xdc4475ab
	s_mov_b32 s46, 0x62b698e2
	;; [unrolled: 1-line block ×4, first 2 shown]
	v_fma_f64 v[84:85], v[14:15], s[16:17], s[90:91]
	v_fma_f64 v[86:87], v[14:15], s[46:47], s[22:23]
	s_mov_b32 s16, 0xa18918b2
	s_mov_b32 s22, 0x8b264660
	;; [unrolled: 1-line block ×4, first 2 shown]
	v_fma_f64 v[80:81], v[14:15], v[80:81], s[16:17]
	v_fma_f64 v[66:67], v[14:15], v[66:67], s[22:23]
	s_mov_b32 s16, 0x98767540
	s_mov_b32 s17, 0xbda10e1f
	v_fma_f64 v[68:69], v[14:15], v[68:69], s[78:79]
	v_fma_f64 v[70:71], v[14:15], v[70:71], s[16:17]
	s_mov_b32 s16, 0x6b4963ff
	s_mov_b32 s17, 0x3ce77967
	v_fma_f64 v[34:35], v[14:15], v[34:35], s[62:63]
	s_mov_b32 s25, 0x3f244f04
	v_fma_f64 v[18:19], v[14:15], v[18:19], s[8:9]
	s_mov_b32 s8, 0xf1e8a560
	s_mov_b32 s9, 0xbd551d81
	v_fma_f64 v[30:31], v[14:15], v[30:31], s[28:29]
	v_fma_f64 v[82:83], v[14:15], v[82:83], s[8:9]
	s_mov_b32 s8, 0xa5dec987
	s_mov_b32 s9, 0x3d412db9
	v_fma_f64 v[86:87], v[14:15], v[86:87], s[16:17]
	v_fma_f64 v[84:85], v[14:15], v[84:85], s[8:9]
	s_mov_b32 s8, 0x43e2c15c
	s_mov_b32 s16, 0x6e864353
	;; [unrolled: 1-line block ×4, first 2 shown]
	v_fma_f64 v[80:81], v[14:15], v[80:81], s[8:9]
	v_fma_f64 v[66:67], v[14:15], v[66:67], s[16:17]
	s_mov_b32 s8, 0x965a09b3
	s_mov_b32 s16, 0x933df355
	;; [unrolled: 1-line block ×4, first 2 shown]
	v_fma_f64 v[70:71], v[14:15], v[70:71], s[8:9]
	s_mov_b32 s8, 0x6e3db02e
	s_mov_b32 s9, 0x3d766e65
	v_fma_f64 v[18:19], v[14:15], v[18:19], s[20:21]
	v_fma_f64 v[68:69], v[14:15], v[68:69], s[74:75]
	;; [unrolled: 1-line block ×5, first 2 shown]
	s_mov_b32 s16, 0xcfca7465
	s_mov_b32 s17, 0x3d81731e
	;; [unrolled: 1-line block ×3, first 2 shown]
	v_fma_f64 v[84:85], v[14:15], v[84:85], s[8:9]
	v_fma_f64 v[86:87], v[14:15], v[86:87], s[16:17]
	s_mov_b32 s8, 0xda70f698
	s_mov_b32 s16, 0x9e195e73
	;; [unrolled: 1-line block ×4, first 2 shown]
	v_fma_f64 v[80:81], v[14:15], v[80:81], s[8:9]
	v_fma_f64 v[66:67], v[14:15], v[66:67], s[16:17]
	s_mov_b32 s8, 0xc6455ca0
	s_mov_b32 s9, 0xbe356b0b
	;; [unrolled: 1-line block ×3, first 2 shown]
	v_fma_f64 v[70:71], v[14:15], v[70:71], s[8:9]
	s_mov_b32 s8, 0x49d0080b
	s_mov_b32 s9, 0xbdcd5df8
	v_fma_f64 v[18:19], v[14:15], v[18:19], s[14:15]
	s_mov_b32 s14, 0x9e271c57
	s_mov_b32 s15, 0x3dc52f74
	v_fma_f64 v[68:69], v[14:15], v[68:69], s[42:43]
	v_fma_f64 v[82:83], v[14:15], v[82:83], s[14:15]
	s_mov_b32 s14, 0xaf0b43c4
	s_mov_b32 s15, 0xbdcdb098
	v_fma_f64 v[34:35], v[14:15], v[34:35], s[44:45]
	v_fma_f64 v[84:85], v[14:15], v[84:85], s[8:9]
	;; [unrolled: 1-line block ×3, first 2 shown]
	s_mov_b32 s8, 0x890aff2e
	s_mov_b32 s14, 0xdbb2ed68
	;; [unrolled: 1-line block ×4, first 2 shown]
	v_fma_f64 v[80:81], v[14:15], v[80:81], s[8:9]
	v_fma_f64 v[66:67], v[14:15], v[66:67], s[14:15]
	s_mov_b32 s8, 0xd7073b90
	s_mov_b32 s9, 0xbe885c5e
	v_fma_f64 v[30:31], v[14:15], v[30:31], s[24:25]
	v_fma_f64 v[70:71], v[14:15], v[70:71], s[8:9]
	s_mov_b32 s8, 0x7bb9f8b5
	s_mov_b32 s9, 0x3e06cee2
	v_fma_f64 v[18:19], v[14:15], v[18:19], s[6:7]
	s_mov_b32 s6, 0xcaef88ac
	s_mov_b32 s7, 0x3de415e8
	;; [unrolled: 1-line block ×3, first 2 shown]
	v_fma_f64 v[82:83], v[14:15], v[82:83], s[6:7]
	s_mov_b32 s6, 0x4131e3de
	s_mov_b32 s7, 0x3e052b4e
	v_fma_f64 v[34:35], v[14:15], v[34:35], s[26:27]
	v_fma_f64 v[84:85], v[14:15], v[84:85], s[6:7]
	;; [unrolled: 1-line block ×3, first 2 shown]
	s_mov_b32 s6, 0x40430555
	s_mov_b32 s8, 0x58a7987
	;; [unrolled: 1-line block ×4, first 2 shown]
	v_fma_f64 v[80:81], v[14:15], v[80:81], s[6:7]
	v_fma_f64 v[66:67], v[14:15], v[66:67], s[8:9]
	s_mov_b32 s6, 0xfd62f2c1
	s_mov_b32 s7, 0x3ec69aad
	;; [unrolled: 1-line block ×3, first 2 shown]
	v_fma_f64 v[70:71], v[14:15], v[70:71], s[6:7]
	s_mov_b32 s6, 0x2f1dd66c
	s_mov_b32 s7, 0xbe42e596
	v_fma_f64 v[18:19], v[14:15], v[18:19], s[4:5]
	s_mov_b32 s4, 0x89a6d81e
	s_mov_b32 s5, 0xbe45c95e
	;; [unrolled: 1-line block ×3, first 2 shown]
	v_fma_f64 v[82:83], v[14:15], v[82:83], s[4:5]
	s_mov_b32 s4, 0x61375fd6
	s_mov_b32 s5, 0xbe45abd9
	v_fma_f64 v[34:35], v[14:15], v[34:35], s[12:13]
	v_fma_f64 v[84:85], v[14:15], v[84:85], s[4:5]
	;; [unrolled: 1-line block ×3, first 2 shown]
	s_mov_b32 s4, 0xb8c6064b
	s_mov_b32 s6, 0x83ac1898
	;; [unrolled: 1-line block ×4, first 2 shown]
	v_fma_f64 v[80:81], v[14:15], v[80:81], s[4:5]
	v_fma_f64 v[66:67], v[14:15], v[66:67], s[6:7]
	s_mov_b32 s4, 0x349971cc
	s_mov_b32 s5, 0x3ec71050
	;; [unrolled: 1-line block ×3, first 2 shown]
	v_fma_f64 v[68:69], v[14:15], v[68:69], s[4:5]
	s_mov_b32 s4, 0xe1c464df
	s_mov_b32 s5, 0x3efa37bf
	;; [unrolled: 1-line block ×3, first 2 shown]
	v_fma_f64 v[70:71], v[14:15], v[70:71], s[4:5]
	s_mov_b32 s4, 0xa82dee53
	s_mov_b32 s5, 0x3e9383ab
	v_fma_f64 v[82:83], v[14:15], v[82:83], s[6:7]
	s_mov_b32 s6, 0x5c8de2a0
	s_mov_b32 s7, 0x3e880b44
	;; [unrolled: 1-line block ×3, first 2 shown]
	v_fma_f64 v[84:85], v[14:15], v[84:85], s[4:5]
	v_fma_f64 v[86:87], v[14:15], v[86:87], s[6:7]
	s_mov_b32 s4, 0x2fd01fc
	s_mov_b32 s6, 0xdeafe356
	;; [unrolled: 1-line block ×4, first 2 shown]
	v_fma_f64 v[80:81], v[14:15], v[80:81], s[4:5]
	v_fma_f64 v[66:67], v[14:15], v[66:67], s[6:7]
	s_mov_b32 s4, 0x85024b82
	s_mov_b32 s5, 0xbf1af226
	s_mov_b32 s6, 0x431b61c1
	v_fma_f64 v[68:69], v[14:15], v[68:69], s[4:5]
	s_mov_b32 s4, 0x48858617
	s_mov_b32 s5, 0xbf55e720
	;; [unrolled: 1-line block ×3, first 2 shown]
	v_fma_f64 v[70:71], v[14:15], v[70:71], s[4:5]
	s_mov_b32 s4, 0x87d8e61b
	s_mov_b32 s5, 0xbed9ae85
	v_fma_f64 v[82:83], v[14:15], v[82:83], s[6:7]
	s_mov_b32 s6, 0xb5deb81e
	s_mov_b32 s7, 0xbec8d62b
	v_fma_f64 v[30:31], v[14:15], v[30:31], s[18:19]
	v_fma_f64 v[84:85], v[14:15], v[84:85], s[4:5]
	;; [unrolled: 1-line block ×3, first 2 shown]
	s_mov_b32 s4, 0x1951ea81
	s_mov_b32 s6, 0x8c6a13f6
	;; [unrolled: 1-line block ×4, first 2 shown]
	v_fma_f64 v[80:81], v[14:15], v[80:81], s[4:5]
	v_fma_f64 v[66:67], v[14:15], v[66:67], s[6:7]
	s_mov_b32 s4, 0x89acc007
	s_mov_b32 s5, 0x3f654b01
	;; [unrolled: 1-line block ×3, first 2 shown]
	v_fma_f64 v[68:69], v[14:15], v[68:69], s[4:5]
	s_mov_b32 s4, 0x6404a32c
	s_mov_b32 s5, 0x3f97764b
	s_mov_b32 s7, 0x3fcae948
	v_fma_f64 v[70:71], v[14:15], v[70:71], s[4:5]
	s_mov_b32 s4, 0x6ed047af
	s_mov_b32 s5, 0x3f1a3de5
	v_fma_f64 v[82:83], v[14:15], v[82:83], s[8:9]
	s_mov_b32 s8, 0x128c46c0
	s_mov_b32 s9, 0x3f01b8f0
	v_fma_f64 v[34:35], v[14:15], v[34:35], s[6:7]
	v_fma_f64 v[84:85], v[14:15], v[84:85], s[4:5]
	;; [unrolled: 1-line block ×3, first 2 shown]
	s_mov_b32 s4, 0x691c30a0
	s_mov_b32 s8, 0x3ced387c
	;; [unrolled: 1-line block ×4, first 2 shown]
	v_fma_f64 v[80:81], v[14:15], v[80:81], s[4:5]
	v_fma_f64 v[66:67], v[14:15], v[66:67], s[8:9]
	s_mov_b32 s4, 0x1a771d5c
	s_mov_b32 s5, 0xbfa64ef8
	;; [unrolled: 1-line block ×3, first 2 shown]
	v_fma_f64 v[68:69], v[14:15], v[68:69], s[4:5]
	s_mov_b32 s4, 0xcda3b4e4
	s_mov_b32 s5, 0xbfcf7194
	;; [unrolled: 1-line block ×3, first 2 shown]
	v_fma_f64 v[70:71], v[14:15], v[70:71], s[4:5]
	s_mov_b32 s4, 0xb87284f9
	s_mov_b32 s5, 0xbf5d9a27
	v_fma_f64 v[82:83], v[14:15], v[82:83], s[8:9]
	s_mov_b32 s8, 0x96ed4522
	s_mov_b32 s9, 0xbf377d67
	;; [unrolled: 1-line block ×3, first 2 shown]
	v_fma_f64 v[84:85], v[14:15], v[84:85], s[4:5]
	v_fma_f64 v[86:87], v[14:15], v[86:87], s[8:9]
	s_mov_b32 s4, 0x6fa418e7
	s_mov_b32 s8, 0x2fc7211a
	;; [unrolled: 1-line block ×4, first 2 shown]
	v_fma_f64 v[113:114], v[14:15], v[80:81], s[4:5]
	v_fma_f64 v[115:116], v[14:15], v[66:67], s[8:9]
	s_mov_b32 s4, 0x6d8dfa60
	s_mov_b32 s5, 0x3fe1fd4d
	;; [unrolled: 1-line block ×3, first 2 shown]
	v_fma_f64 v[66:67], v[14:15], v[68:69], s[4:5]
	s_mov_b32 s4, 0x2d8bf199
	s_mov_b32 s5, 0x3ffe6665
	s_mov_b32 s10, 0x2911b19e
	v_fma_f64 v[68:69], v[14:15], v[70:71], s[4:5]
	s_mov_b32 s4, 0x6ff0913d
	s_mov_b32 s5, 0x3fad9817
	v_fma_f64 v[80:81], v[14:15], v[82:83], s[6:7]
	s_mov_b32 s6, 0x92e87462
	s_mov_b32 s7, 0x3f812fe5
	;; [unrolled: 1-line block ×3, first 2 shown]
	v_fma_f64 v[96:97], v[14:15], v[84:85], s[4:5]
	v_fma_f64 v[86:87], v[14:15], v[86:87], s[6:7]
	s_mov_b32 s4, 0x2b091f86
	s_mov_b32 s6, 0x5cfa401c
	;; [unrolled: 1-line block ×4, first 2 shown]
	v_fma_f64 v[30:31], v[14:15], v[30:31], s[10:11]
	v_fma_f64 v[84:85], v[14:15], v[113:114], s[4:5]
	;; [unrolled: 1-line block ×3, first 2 shown]
	v_readlane_b32 s94, v124, 2
	v_readlane_b32 s90, v124, 0
	;; [unrolled: 1-line block ×8, first 2 shown]
.LBB0_24:
	s_or_b32 exec_lo, exec_lo, s92
                                        ; implicit-def: $vgpr14_vgpr15
.LBB0_25:
	s_andn2_saveexec_b32 s76, s38
	s_cbranch_execz .LBB0_27
; %bb.26:
	v_add_f64 v[14:15], 0xc0290000, v[14:15]
	s_mov_b32 s4, 0x3d981884
	s_mov_b32 s6, 0x4d6c9a3b
	;; [unrolled: 1-line block ×21, first 2 shown]
	v_fma_f64 v[18:19], v[14:15], s[6:7], s[4:5]
	v_fma_f64 v[30:31], v[14:15], s[16:17], s[12:13]
	s_mov_b32 s16, 0x73251650
	s_mov_b32 s17, 0x3d48756e
	v_fma_f64 v[66:67], v[14:15], s[74:75], s[62:63]
	s_mov_b32 s73, 0xbce6c700
	s_mov_b32 s78, 0x324f96b8
	v_fma_f64 v[34:35], v[14:15], s[72:73], s[60:61]
	s_mov_b32 s88, 0x667a3f1f
	s_mov_b32 s90, 0x2430899
	s_mov_b32 s79, 0xbc88e31e
	s_mov_b32 s89, 0x3c472a6e
	;; [unrolled: 1-line block ×3, first 2 shown]
	v_fma_f64 v[68:69], v[14:15], s[88:89], s[78:79]
	s_mov_b32 s28, 0x2769b7e0
	s_mov_b32 s29, 0xbd9245f4
	;; [unrolled: 1-line block ×8, first 2 shown]
	v_fma_f64 v[18:19], v[14:15], v[18:19], s[10:11]
	v_fma_f64 v[30:31], v[14:15], v[30:31], s[16:17]
	s_mov_b32 s93, 0x3cc7a056
	s_mov_b32 s95, 0x3cc077d2
	v_fma_f64 v[66:67], v[14:15], v[66:67], s[90:91]
	s_mov_b32 s22, 0xf274b5f2
	s_mov_b32 s23, 0x3db94dce
	;; [unrolled: 3-line block ×3, first 2 shown]
	s_mov_b32 s45, 0x3dda4832
	s_mov_b32 s73, 0xbd6fbf8d
	;; [unrolled: 1-line block ×3, first 2 shown]
	v_fma_f64 v[68:69], v[14:15], v[68:69], s[92:93]
	s_mov_b32 s39, 0xbcfc60f5
	s_mov_b32 s14, 0x44ffa235
	;; [unrolled: 1-line block ×8, first 2 shown]
	v_fma_f64 v[18:19], v[14:15], v[18:19], s[42:43]
	v_fma_f64 v[30:31], v[14:15], v[30:31], s[56:57]
	s_mov_b32 s89, 0xbcfcee44
	s_mov_b32 s92, 0x7be99d25
	v_fma_f64 v[66:67], v[14:15], v[66:67], s[94:95]
	s_mov_b32 s94, 0x79c7fa83
	s_mov_b32 s95, 0xbcfc1d10
	;; [unrolled: 3-line block ×4, first 2 shown]
	s_mov_b32 s75, 0xbdcff69e
	s_mov_b32 s78, 0x2eb8143d
	;; [unrolled: 1-line block ×9, first 2 shown]
	v_fma_f64 v[18:19], v[14:15], v[18:19], s[28:29]
	v_fma_f64 v[30:31], v[14:15], v[30:31], s[46:47]
	s_mov_b32 s18, 0xa370ab3a
	s_mov_b32 s19, 0xbeaf609a
	v_fma_f64 v[66:67], v[14:15], v[66:67], s[38:39]
	s_mov_b32 s62, 0x8039f9ac
	s_mov_b32 s58, 0xc44fc871
	;; [unrolled: 3-line block ×4, first 2 shown]
	s_mov_b32 s12, 0x88880c42
	s_mov_b32 s13, 0x3ef90499
	;; [unrolled: 1-line block ×9, first 2 shown]
	v_fma_f64 v[18:19], v[14:15], v[18:19], s[22:23]
	v_fma_f64 v[30:31], v[14:15], v[30:31], s[44:45]
	s_mov_b32 s44, 0xdb40a2be
	s_mov_b32 s45, 0x3d2b6da6
	v_fma_f64 v[66:67], v[14:15], v[66:67], s[78:79]
	v_fma_f64 v[70:71], v[14:15], s[72:73], s[44:45]
	s_mov_b32 s44, 0x61dd8f67
	s_mov_b32 s45, 0x3cb9f134
	;; [unrolled: 1-line block ×3, first 2 shown]
	v_fma_f64 v[80:81], v[14:15], s[44:45], s[94:95]
	s_mov_b32 s73, 0xbd06e3e3
	s_mov_b32 s44, 0x4dafe845
	v_fma_f64 v[68:69], v[14:15], v[68:69], s[72:73]
	s_mov_b32 s72, 0x275ae779
	s_mov_b32 s45, 0xbcd300e4
	;; [unrolled: 1-line block ×3, first 2 shown]
	v_fma_f64 v[34:35], v[14:15], v[34:35], s[62:63]
	v_fma_f64 v[82:83], v[14:15], v[82:83], s[58:59]
	s_mov_b32 s22, 0x804097dd
	s_mov_b32 s57, 0x3ebb91e1
	;; [unrolled: 1-line block ×4, first 2 shown]
	v_fma_f64 v[18:19], v[14:15], v[18:19], s[14:15]
	v_fma_f64 v[30:31], v[14:15], v[30:31], s[40:41]
	s_mov_b32 s40, 0x5fc3e8cf
	s_mov_b32 s41, 0x3d1629f8
	;; [unrolled: 1-line block ×3, first 2 shown]
	v_fma_f64 v[70:71], v[14:15], v[70:71], s[92:93]
	v_fma_f64 v[84:85], v[14:15], s[44:45], s[40:41]
	s_mov_b32 s15, 0xbd8ac94c
	s_mov_b32 s40, 0xc885dd0a
	v_fma_f64 v[80:81], v[14:15], v[80:81], s[72:73]
	s_mov_b32 s44, 0x1a07c712
	s_mov_b32 s41, 0xbd635a41
	;; [unrolled: 3-line block ×3, first 2 shown]
	s_mov_b32 s42, 0x7a14b787
	v_fma_f64 v[34:35], v[14:15], v[34:35], s[60:61]
	v_fma_f64 v[82:83], v[14:15], v[82:83], s[46:47]
	s_mov_b32 s43, 0xbf070c3d
	s_mov_b32 s28, 0x91b23729
	;; [unrolled: 1-line block ×4, first 2 shown]
	v_fma_f64 v[18:19], v[14:15], v[18:19], s[8:9]
	v_fma_f64 v[30:31], v[14:15], v[30:31], s[24:25]
	s_mov_b32 s8, 0x8fe1b4c0
	s_mov_b32 s24, 0xccbc4382
	;; [unrolled: 1-line block ×4, first 2 shown]
	v_fma_f64 v[70:71], v[14:15], v[70:71], s[14:15]
	v_fma_f64 v[86:87], v[14:15], s[24:25], s[8:9]
	s_mov_b32 s8, 0xcf52a20a
	s_mov_b32 s14, 0x4e141786
	v_fma_f64 v[84:85], v[14:15], v[84:85], s[40:41]
	v_fma_f64 v[80:81], v[14:15], v[80:81], s[44:45]
	s_mov_b32 s9, 0xbd822d16
	s_mov_b32 s15, 0xbd709e30
	;; [unrolled: 4-line block ×3, first 2 shown]
	s_mov_b32 s9, 0xbe150723
	s_mov_b32 s15, 0x3d307872
	;; [unrolled: 1-line block ×4, first 2 shown]
	v_fma_f64 v[18:19], v[14:15], v[18:19], s[18:19]
	s_mov_b32 s18, 0xb1610f8b
	s_mov_b32 s19, 0x3da6132b
	v_fma_f64 v[34:35], v[14:15], v[34:35], s[56:57]
	v_fma_f64 v[82:83], v[14:15], v[82:83], s[22:23]
	s_mov_b32 s27, 0xbee578b7
	v_fma_f64 v[70:71], v[14:15], v[70:71], s[8:9]
	v_fma_f64 v[86:87], v[14:15], v[86:87], s[14:15]
	s_mov_b32 s8, 0xe80b56bf
	s_mov_b32 s14, 0xdb22a9a8
	v_fma_f64 v[84:85], v[14:15], v[84:85], s[18:19]
	v_fma_f64 v[80:81], v[14:15], v[80:81], s[24:25]
	s_mov_b32 s9, 0x3dbd765d
	;; [unrolled: 4-line block ×3, first 2 shown]
	s_mov_b32 s9, 0xbe21a946
	s_mov_b32 s14, 0x8213ce5e
	;; [unrolled: 1-line block ×5, first 2 shown]
	v_fma_f64 v[18:19], v[14:15], v[18:19], s[12:13]
	s_mov_b32 s12, 0xfb4ad36
	s_mov_b32 s13, 0xbdc7471d
	v_fma_f64 v[34:35], v[14:15], v[34:35], s[42:43]
	v_fma_f64 v[30:31], v[14:15], v[30:31], s[26:27]
	s_mov_b32 s20, 0xc6a4ccdd
	v_fma_f64 v[70:71], v[14:15], v[70:71], s[8:9]
	v_fma_f64 v[86:87], v[14:15], v[86:87], s[12:13]
	s_mov_b32 s8, 0xc9758841
	s_mov_b32 s12, 0x56577f5a
	v_fma_f64 v[84:85], v[14:15], v[84:85], s[14:15]
	v_fma_f64 v[80:81], v[14:15], v[80:81], s[18:19]
	s_mov_b32 s9, 0xbdf637f3
	;; [unrolled: 4-line block ×3, first 2 shown]
	s_mov_b32 s9, 0x3dfae132
	s_mov_b32 s12, 0x283a61eb
	;; [unrolled: 1-line block ×5, first 2 shown]
	v_fma_f64 v[18:19], v[14:15], v[18:19], s[6:7]
	s_mov_b32 s6, 0xbc20a899
	s_mov_b32 s7, 0x3e915ac8
	v_fma_f64 v[34:35], v[14:15], v[34:35], s[28:29]
	s_mov_b32 s21, 0x3f30e850
	s_mov_b32 s16, 0xd1bcb01
	v_fma_f64 v[70:71], v[14:15], v[70:71], s[6:7]
	v_fma_f64 v[86:87], v[14:15], v[86:87], s[8:9]
	s_mov_b32 s6, 0x30977660
	s_mov_b32 s8, 0x97007a3e
	v_fma_f64 v[84:85], v[14:15], v[84:85], s[12:13]
	v_fma_f64 v[80:81], v[14:15], v[80:81], s[14:15]
	s_mov_b32 s7, 0x3e2f3e5a
	s_mov_b32 s9, 0x3e0e2679
	v_fma_f64 v[68:69], v[14:15], v[68:69], s[6:7]
	v_fma_f64 v[66:67], v[14:15], v[66:67], s[8:9]
	s_mov_b32 s8, 0x2f48f87d
	s_mov_b32 s9, 0xbe44b9aa
	;; [unrolled: 1-line block ×4, first 2 shown]
	v_fma_f64 v[30:31], v[14:15], v[30:31], s[20:21]
	s_mov_b32 s17, 0xbf76b8d4
	v_fma_f64 v[18:19], v[14:15], v[18:19], s[4:5]
	s_mov_b32 s4, 0x7ac85123
	s_mov_b32 s5, 0x3e84b855
	v_fma_f64 v[34:35], v[14:15], v[34:35], s[6:7]
	v_fma_f64 v[82:83], v[14:15], v[82:83], s[4:5]
	s_mov_b32 s4, 0x5a0507e8
	s_mov_b32 s5, 0x3eb6859a
	v_fma_f64 v[86:87], v[14:15], v[86:87], s[8:9]
	v_fma_f64 v[70:71], v[14:15], v[70:71], s[4:5]
	s_mov_b32 s4, 0xfa7ef0e2
	s_mov_b32 s8, 0x15b69add
	s_mov_b32 s5, 0xbe71269a
	s_mov_b32 s9, 0xbe761b53
	v_fma_f64 v[84:85], v[14:15], v[84:85], s[4:5]
	v_fma_f64 v[80:81], v[14:15], v[80:81], s[8:9]
	s_mov_b32 s4, 0x3294b524
	s_mov_b32 s8, 0xf8d1f005
	;; [unrolled: 6-line block ×3, first 2 shown]
	s_mov_b32 s8, 0x469636d9
	s_mov_b32 s9, 0x3e96f6e8
	;; [unrolled: 1-line block ×3, first 2 shown]
	v_fma_f64 v[82:83], v[14:15], v[82:83], s[4:5]
	s_mov_b32 s4, 0x575e8242
	s_mov_b32 s5, 0xbf0e0908
	v_fma_f64 v[86:87], v[14:15], v[86:87], s[8:9]
	v_fma_f64 v[70:71], v[14:15], v[70:71], s[4:5]
	s_mov_b32 s4, 0x5d5dbc4b
	s_mov_b32 s8, 0xe8025e82
	s_mov_b32 s5, 0x3eb18d8d
	s_mov_b32 s9, 0x3eb1078d
	v_fma_f64 v[84:85], v[14:15], v[84:85], s[4:5]
	v_fma_f64 v[80:81], v[14:15], v[80:81], s[8:9]
	s_mov_b32 s4, 0xaa0b4d06
	s_mov_b32 s8, 0x5c9447e7
	;; [unrolled: 6-line block ×3, first 2 shown]
	s_mov_b32 s7, 0xbedf889e
	s_mov_b32 s8, 0x5be4bfef
	;; [unrolled: 1-line block ×3, first 2 shown]
	v_fma_f64 v[82:83], v[14:15], v[82:83], s[4:5]
	s_mov_b32 s4, 0x26aaf542
	s_mov_b32 s5, 0xbf4f55d1
	v_fma_f64 v[86:87], v[14:15], v[86:87], s[6:7]
	v_fma_f64 v[70:71], v[14:15], v[70:71], s[4:5]
	s_mov_b32 s4, 0x6ab88e3c
	s_mov_b32 s6, 0x6b703095
	s_mov_b32 s5, 0xbef227e9
	s_mov_b32 s7, 0xbee944cc
	v_fma_f64 v[84:85], v[14:15], v[84:85], s[4:5]
	v_fma_f64 v[80:81], v[14:15], v[80:81], s[6:7]
	s_mov_b32 s4, 0xe8fdc5f
	s_mov_b32 s6, 0x88c538d8
	;; [unrolled: 6-line block ×3, first 2 shown]
	v_fma_f64 v[30:31], v[14:15], v[30:31], s[16:17]
	s_mov_b32 s6, 0x64780042
	s_mov_b32 s7, 0x3fd2d35d
	v_fma_f64 v[82:83], v[14:15], v[82:83], s[4:5]
	s_mov_b32 s4, 0xf4bfeb02
	s_mov_b32 s5, 0x3fa5ad27
	v_fma_f64 v[86:87], v[14:15], v[86:87], s[8:9]
	v_fma_f64 v[70:71], v[14:15], v[70:71], s[4:5]
	s_mov_b32 s4, 0xc06479e1
	s_mov_b32 s8, 0x4bc064c
	s_mov_b32 s5, 0x3f30e582
	s_mov_b32 s9, 0x3f20a303
	v_fma_f64 v[84:85], v[14:15], v[84:85], s[4:5]
	v_fma_f64 v[80:81], v[14:15], v[80:81], s[8:9]
	s_mov_b32 s4, 0xaf998aff
	s_mov_b32 s8, 0x6c589268
	;; [unrolled: 6-line block ×4, first 2 shown]
	v_fma_f64 v[86:87], v[14:15], v[86:87], s[8:9]
	v_fma_f64 v[70:71], v[14:15], v[70:71], s[4:5]
	s_mov_b32 s4, 0x18ec84a1
	s_mov_b32 s8, 0x57f46cc6
	s_mov_b32 s5, 0xbf6c5c18
	s_mov_b32 s9, 0xbf514aa5
	v_fma_f64 v[84:85], v[14:15], v[84:85], s[4:5]
	v_fma_f64 v[113:114], v[14:15], v[80:81], s[8:9]
	s_mov_b32 s4, 0xbd7bef0a
	s_mov_b32 s8, 0x893114de
	s_mov_b32 s5, 0xbf1f4f16
	s_mov_b32 s9, 0xbed2126b
	;; [unrolled: 6-line block ×3, first 2 shown]
	s_mov_b32 s10, 0xa1d5eb5f
	v_fma_f64 v[66:67], v[14:15], v[82:83], s[4:5]
	s_mov_b32 s4, 0x9bac35db
	s_mov_b32 s5, 0x400efc7b
	v_fma_f64 v[80:81], v[14:15], v[86:87], s[6:7]
	v_fma_f64 v[68:69], v[14:15], v[70:71], s[4:5]
	s_mov_b32 s4, 0xca996a01
	s_mov_b32 s6, 0x452e2709
	;; [unrolled: 1-line block ×4, first 2 shown]
	v_fma_f64 v[96:97], v[14:15], v[84:85], s[4:5]
	v_fma_f64 v[86:87], v[14:15], v[113:114], s[6:7]
	s_mov_b32 s4, 0xf4cf2be1
	s_mov_b32 s6, 0x7c3f8603
	;; [unrolled: 1-line block ×5, first 2 shown]
	v_fma_f64 v[30:31], v[14:15], v[30:31], s[10:11]
	v_fma_f64 v[84:85], v[14:15], v[115:116], s[4:5]
	;; [unrolled: 1-line block ×3, first 2 shown]
	v_readlane_b32 s94, v124, 2
	v_readlane_b32 s62, v124, 6
	;; [unrolled: 1-line block ×8, first 2 shown]
.LBB0_27:
	s_or_b32 exec_lo, exec_lo, s76
                                        ; implicit-def: $vgpr14_vgpr15
.LBB0_28:
	s_andn2_saveexec_b32 s58, s37
	s_cbranch_execz .LBB0_30
; %bb.29:
	v_add_f64 v[14:15], 0xc01e0000, v[14:15]
	s_mov_b32 s44, 0x2b78eec9
	s_mov_b32 s46, 0x8adfe63c
	;; [unrolled: 1-line block ×21, first 2 shown]
	v_fma_f64 v[30:31], v[14:15], s[46:47], s[44:45]
	v_fma_f64 v[18:19], v[14:15], s[18:19], s[6:7]
	v_fma_f64 v[34:35], v[14:15], s[26:27], s[24:25]
	v_fma_f64 v[66:67], v[14:15], s[72:73], s[62:63]
	s_mov_b32 s43, 0xbd76cecf
	s_mov_b32 s44, 0x352ff8a5
	;; [unrolled: 1-line block ×6, first 2 shown]
	v_fma_f64 v[68:69], v[14:15], s[46:47], s[44:45]
	s_mov_b32 s77, 0xbce9e948
	s_mov_b32 s16, 0x7dd99203
	;; [unrolled: 1-line block ×11, first 2 shown]
	v_fma_f64 v[30:31], v[14:15], v[30:31], s[74:75]
	v_fma_f64 v[18:19], v[14:15], v[18:19], s[42:43]
	;; [unrolled: 1-line block ×3, first 2 shown]
	s_mov_b32 s74, 0xa828f8e
	s_mov_b32 s75, 0xbce89767
	;; [unrolled: 1-line block ×3, first 2 shown]
	v_fma_f64 v[66:67], v[14:15], v[66:67], s[74:75]
	s_mov_b32 s29, 0x3e02c646
	s_mov_b32 s62, 0xd5c8363b
	;; [unrolled: 1-line block ×3, first 2 shown]
	v_fma_f64 v[68:69], v[14:15], v[68:69], s[60:61]
	s_mov_b32 s88, 0xdcee7665
	s_mov_b32 s89, 0xbd4c7821
	;; [unrolled: 1-line block ×11, first 2 shown]
	v_fma_f64 v[30:31], v[14:15], v[30:31], s[76:77]
	v_fma_f64 v[18:19], v[14:15], v[18:19], s[40:41]
	;; [unrolled: 1-line block ×3, first 2 shown]
	s_mov_b32 s16, 0x598aa2e3
	s_mov_b32 s17, 0x3d0eee09
	v_fma_f64 v[82:83], v[14:15], s[74:75], s[60:61]
	v_fma_f64 v[70:71], v[14:15], s[78:79], s[16:17]
	s_mov_b32 s16, 0x534d4770
	s_mov_b32 s78, 0x48581dae
	;; [unrolled: 1-line block ×4, first 2 shown]
	v_fma_f64 v[66:67], v[14:15], v[66:67], s[16:17]
	v_fma_f64 v[68:69], v[14:15], v[68:69], s[62:63]
	s_mov_b32 s62, 0xd0bb85bd
	s_mov_b32 s63, 0xbd1a6043
	;; [unrolled: 1-line block ×9, first 2 shown]
	v_fma_f64 v[30:31], v[14:15], v[30:31], s[78:79]
	v_fma_f64 v[18:19], v[14:15], v[18:19], s[28:29]
	;; [unrolled: 1-line block ×3, first 2 shown]
	s_mov_b32 s78, 0xb16f950
	s_mov_b32 s79, 0x3cd6a3e8
	v_fma_f64 v[82:83], v[14:15], v[82:83], s[76:77]
	v_fma_f64 v[80:81], v[14:15], s[78:79], s[62:63]
	;; [unrolled: 1-line block ×3, first 2 shown]
	s_mov_b32 s62, 0xaf7b6d71
	s_mov_b32 s78, 0x66878a23
	;; [unrolled: 1-line block ×4, first 2 shown]
	v_fma_f64 v[66:67], v[14:15], v[66:67], s[62:63]
	s_mov_b32 s72, 0x9ec53dbe
	s_mov_b32 s28, 0xc66f66ea
	;; [unrolled: 1-line block ×6, first 2 shown]
	v_fma_f64 v[68:69], v[14:15], v[68:69], s[72:73]
	s_mov_b32 s8, 0x33a0d43c
	s_mov_b32 s42, 0x4bd145e0
	v_fma_f64 v[30:31], v[14:15], v[30:31], s[78:79]
	v_fma_f64 v[18:19], v[14:15], v[18:19], s[22:23]
	s_mov_b32 s22, 0x8b7ba76c
	v_fma_f64 v[34:35], v[14:15], v[34:35], s[12:13]
	s_mov_b32 s12, 0x25f57856
	s_mov_b32 s23, 0xbd8496e5
	;; [unrolled: 1-line block ×3, first 2 shown]
	v_fma_f64 v[82:83], v[14:15], v[82:83], s[28:29]
	v_fma_f64 v[84:85], v[14:15], s[12:13], s[22:23]
	s_mov_b32 s12, 0x42e9a33d
	s_mov_b32 s22, 0xeb2d1e87
	s_mov_b32 s13, 0x3d5bf593
	s_mov_b32 s23, 0x3d8ae620
	v_fma_f64 v[80:81], v[14:15], v[80:81], s[12:13]
	v_fma_f64 v[70:71], v[14:15], v[70:71], s[22:23]
	s_mov_b32 s12, 0x6107b2b8
	s_mov_b32 s22, 0x1d28ef5c
	;; [unrolled: 1-line block ×4, first 2 shown]
	v_fma_f64 v[66:67], v[14:15], v[66:67], s[12:13]
	s_mov_b32 s12, 0x38a5157f
	s_mov_b32 s13, 0x3d01e9e5
	v_fma_f64 v[30:31], v[14:15], v[30:31], s[22:23]
	v_fma_f64 v[18:19], v[14:15], v[18:19], s[18:19]
	s_mov_b32 s18, 0xda670191
	v_fma_f64 v[34:35], v[14:15], v[34:35], s[10:11]
	s_mov_b32 s10, 0x4e41c8a5
	s_mov_b32 s19, 0x3d9e2d87
	s_mov_b32 s11, 0xbd517e41
	s_mov_b32 s46, 0x7dfce931
	v_fma_f64 v[84:85], v[14:15], v[84:85], s[18:19]
	v_fma_f64 v[86:87], v[14:15], s[12:13], s[10:11]
	s_mov_b32 s10, 0xf0ddbcb9
	s_mov_b32 s12, 0x535fa1cf
	s_mov_b32 s11, 0xbd9e0a80
	s_mov_b32 s13, 0xbdc81f68
	v_fma_f64 v[80:81], v[14:15], v[80:81], s[10:11]
	;; [unrolled: 6-line block ×3, first 2 shown]
	s_mov_b32 s10, 0xc922ff7d
	v_fma_f64 v[30:31], v[14:15], v[30:31], s[12:13]
	v_fma_f64 v[18:19], v[14:15], v[18:19], s[56:57]
	s_mov_b32 s11, 0x3d94f0af
	v_fma_f64 v[34:35], v[14:15], v[34:35], s[4:5]
	s_mov_b32 s4, 0xdaac4360
	s_mov_b32 s5, 0x3e04e65f
	s_mov_b32 s16, 0x7b141dc
	s_mov_b32 s9, 0xbf4c7158
	v_fma_f64 v[84:85], v[14:15], v[84:85], s[4:5]
	v_fma_f64 v[86:87], v[14:15], v[86:87], s[10:11]
	s_mov_b32 s4, 0x667b9cd1
	s_mov_b32 s10, 0x1c98dfa8
	s_mov_b32 s5, 0x3ddf5b76
	s_mov_b32 s11, 0x3e045ac2
	v_fma_f64 v[80:81], v[14:15], v[80:81], s[4:5]
	;; [unrolled: 6-line block ×3, first 2 shown]
	s_mov_b32 s43, 0x3f4010e5
	v_fma_f64 v[30:31], v[14:15], v[30:31], s[10:11]
	s_mov_b32 s47, 0x3e5ede9c
	s_mov_b32 s17, 0xbe147434
	v_fma_f64 v[68:69], v[14:15], v[68:69], s[46:47]
	v_fma_f64 v[18:19], v[14:15], v[18:19], s[42:43]
	;; [unrolled: 1-line block ×4, first 2 shown]
	s_mov_b32 s4, 0xea5456b2
	s_mov_b32 s8, 0x78af78eb
	s_mov_b32 s5, 0x3e371ca5
	s_mov_b32 s9, 0xbdda3632
	v_fma_f64 v[84:85], v[14:15], v[84:85], s[4:5]
	v_fma_f64 v[86:87], v[14:15], v[86:87], s[8:9]
	s_mov_b32 s4, 0x55df584b
	s_mov_b32 s8, 0x41bf7da7
	s_mov_b32 s5, 0xbe1f5c77
	s_mov_b32 s9, 0xbe401d2e
	v_fma_f64 v[80:81], v[14:15], v[80:81], s[4:5]
	v_fma_f64 v[70:71], v[14:15], v[70:71], s[8:9]
	;; [unrolled: 6-line block ×3, first 2 shown]
	s_mov_b32 s6, 0xe8a8a91a
	s_mov_b32 s26, 0xc8a6ce3e
	;; [unrolled: 1-line block ×8, first 2 shown]
	v_fma_f64 v[68:69], v[14:15], v[68:69], s[44:45]
	v_fma_f64 v[96:97], v[14:15], v[18:19], s[26:27]
	;; [unrolled: 1-line block ×4, first 2 shown]
	s_mov_b32 s4, 0xaaa30976
	s_mov_b32 s6, 0xafd91a82
	s_mov_b32 s5, 0xbe70c93b
	s_mov_b32 s7, 0x3e231d6d
	v_fma_f64 v[82:83], v[14:15], v[84:85], s[4:5]
	v_fma_f64 v[84:85], v[14:15], v[86:87], s[6:7]
	s_mov_b32 s4, 0x682653e3
	s_mov_b32 s6, 0xe7c8ec75
	s_mov_b32 s5, 0x3e5dc3e1
	s_mov_b32 s7, 0x3e77c2c5
	v_fma_f64 v[80:81], v[14:15], v[80:81], s[4:5]
	v_fma_f64 v[70:71], v[14:15], v[70:71], s[6:7]
	;; [unrolled: 6-line block ×15, first 2 shown]
	s_mov_b32 s4, 0xece5f442
	s_mov_b32 s5, 0x3f80291d
	;; [unrolled: 1-line block ×3, first 2 shown]
	v_fma_f64 v[34:35], v[14:15], v[34:35], s[4:5]
	s_mov_b32 s4, 0x29051c46
	s_mov_b32 s5, 0x3fa8d7e4
	s_mov_b32 s9, 0x3f38b1c9
	s_mov_b32 s24, 0xad6c1b91
	v_fma_f64 v[82:83], v[14:15], v[82:83], s[4:5]
	v_fma_f64 v[84:85], v[14:15], v[84:85], s[8:9]
	s_mov_b32 s4, 0xc7d35423
	s_mov_b32 s8, 0xeef45a1c
	s_mov_b32 s5, 0x3f4a6274
	s_mov_b32 s9, 0x3f45d34a
	v_fma_f64 v[80:81], v[14:15], v[80:81], s[4:5]
	;; [unrolled: 6-line block ×3, first 2 shown]
	v_fma_f64 v[86:87], v[14:15], v[86:87], s[8:9]
	s_mov_b32 s4, 0x61ea388a
	s_mov_b32 s25, 0x3fbf6215
	s_mov_b32 s5, 0xbfc22eea
	v_fma_f64 v[30:31], v[14:15], v[96:97], s[24:25]
	v_fma_f64 v[96:97], v[14:15], v[34:35], s[4:5]
	s_mov_b32 s4, 0x13d6bdfa
	s_mov_b32 s8, 0x1cee9d81
	s_mov_b32 s5, 0xbff0b204
	s_mov_b32 s9, 0xbf809920
	v_fma_f64 v[82:83], v[14:15], v[82:83], s[4:5]
	v_fma_f64 v[84:85], v[14:15], v[84:85], s[8:9]
	s_mov_b32 s4, 0xbde20ae2
	;; [unrolled: 6-line block ×7, first 2 shown]
	s_mov_b32 s6, 0x4fb575f2
	s_mov_b32 s5, 0x3f651898
	;; [unrolled: 1-line block ×3, first 2 shown]
	v_fma_f64 v[84:85], v[14:15], v[115:116], s[4:5]
	v_fma_f64 v[82:83], v[14:15], v[117:118], s[6:7]
	v_readlane_b32 s62, v124, 6
	v_readlane_b32 s56, v124, 4
	;; [unrolled: 1-line block ×4, first 2 shown]
.LBB0_30:
	s_or_b32 exec_lo, exec_lo, s58
                                        ; implicit-def: $vgpr14_vgpr15
.LBB0_31:
	s_andn2_saveexec_b32 s60, s36
	s_cbranch_execz .LBB0_33
; %bb.32:
	v_add_f64 v[14:15], 0xc0080000, v[14:15]
	s_mov_b32 s6, 0xd51bd4dd
	s_mov_b32 s12, 0xfaa5cf2a
	;; [unrolled: 1-line block ×21, first 2 shown]
	v_fma_f64 v[18:19], v[14:15], s[12:13], s[6:7]
	v_fma_f64 v[30:31], v[14:15], s[42:43], s[40:41]
	s_mov_b32 s40, 0x9c3330dc
	s_mov_b32 s41, 0xbccd6d60
	v_fma_f64 v[68:69], v[14:15], s[76:77], s[74:75]
	v_fma_f64 v[34:35], v[14:15], s[40:41], s[56:57]
	s_mov_b32 s42, 0x3caefba3
	s_mov_b32 s56, 0x4de85980
	;; [unrolled: 1-line block ×5, first 2 shown]
	v_fma_f64 v[66:67], v[14:15], s[56:57], s[42:43]
	s_mov_b32 s76, 0xf3f0bd7f
	s_mov_b32 s23, 0x3e018471
	;; [unrolled: 1-line block ×5, first 2 shown]
	v_fma_f64 v[70:71], v[14:15], s[76:77], s[74:75]
	s_mov_b32 s79, 0x3d8334e2
	s_mov_b32 s44, 0x8b5ed64a
	s_mov_b32 s45, 0xbe12f915
	s_mov_b32 s62, 0xf2dd7a38
	v_fma_f64 v[18:19], v[14:15], v[18:19], s[58:59]
	v_fma_f64 v[30:31], v[14:15], v[30:31], s[26:27]
	s_mov_b32 s26, 0xd35e0577
	s_mov_b32 s27, 0xbd4a225e
	v_fma_f64 v[68:69], v[14:15], v[68:69], s[78:79]
	v_fma_f64 v[34:35], v[14:15], v[34:35], s[26:27]
	s_mov_b32 s63, 0x3db44f52
	s_mov_b32 s18, 0xe78bb409
	;; [unrolled: 1-line block ×5, first 2 shown]
	v_fma_f64 v[66:67], v[14:15], v[66:67], s[62:63]
	s_mov_b32 s62, 0xdcffd663
	s_mov_b32 s63, 0xbd62729a
	;; [unrolled: 1-line block ×5, first 2 shown]
	v_fma_f64 v[80:81], v[14:15], s[74:75], s[62:63]
	v_fma_f64 v[70:71], v[14:15], v[70:71], s[76:77]
	s_mov_b32 s79, 0xbdc028d7
	s_mov_b32 s28, 0x7565c476
	;; [unrolled: 1-line block ×3, first 2 shown]
	v_fma_f64 v[18:19], v[14:15], v[18:19], s[46:47]
	v_fma_f64 v[30:31], v[14:15], v[30:31], s[22:23]
	s_mov_b32 s22, 0x54dbb876
	s_mov_b32 s23, 0x3d86d78e
	v_fma_f64 v[68:69], v[14:15], v[68:69], s[78:79]
	v_fma_f64 v[34:35], v[14:15], v[34:35], s[22:23]
	s_mov_b32 s72, 0x4791187d
	s_mov_b32 s73, 0xbdf74d13
	;; [unrolled: 1-line block ×5, first 2 shown]
	v_fma_f64 v[66:67], v[14:15], v[66:67], s[72:73]
	s_mov_b32 s15, 0x3e90902c
	s_mov_b32 s75, 0x3da1070b
	;; [unrolled: 1-line block ×5, first 2 shown]
	v_fma_f64 v[80:81], v[14:15], v[80:81], s[74:75]
	v_fma_f64 v[70:71], v[14:15], v[70:71], s[76:77]
	s_mov_b32 s24, 0xb25f2bdb
	s_mov_b32 s25, 0x3eb81efc
	s_mov_b32 s58, 0xa2cead72
	v_fma_f64 v[18:19], v[14:15], v[18:19], s[44:45]
	v_fma_f64 v[30:31], v[14:15], v[30:31], s[18:19]
	s_mov_b32 s18, 0x72ab399a
	s_mov_b32 s19, 0xbdc28a91
	v_fma_f64 v[68:69], v[14:15], v[68:69], s[78:79]
	v_fma_f64 v[34:35], v[14:15], v[34:35], s[18:19]
	s_mov_b32 s62, 0xcfb72bde
	s_mov_b32 s72, 0xf755955d
	;; [unrolled: 1-line block ×6, first 2 shown]
	v_fma_f64 v[66:67], v[14:15], v[66:67], s[58:59]
	s_mov_b32 s58, 0xdc14464
	s_mov_b32 s74, 0xe05786a5
	v_fma_f64 v[82:83], v[14:15], s[72:73], s[62:63]
	s_mov_b32 s11, 0xbed4a8c9
	s_mov_b32 s59, 0xbddf806b
	;; [unrolled: 1-line block ×3, first 2 shown]
	v_fma_f64 v[80:81], v[14:15], v[80:81], s[58:59]
	v_fma_f64 v[70:71], v[14:15], v[70:71], s[74:75]
	s_mov_b32 s22, 0xff9e1984
	v_fma_f64 v[18:19], v[14:15], v[18:19], s[28:29]
	v_fma_f64 v[30:31], v[14:15], v[30:31], s[14:15]
	s_mov_b32 s14, 0x50edcfee
	s_mov_b32 s15, 0x3dfba982
	;; [unrolled: 1-line block ×3, first 2 shown]
	v_fma_f64 v[34:35], v[14:15], v[34:35], s[14:15]
	s_mov_b32 s14, 0xeb5d7b7e
	s_mov_b32 s15, 0xbd8113cf
	;; [unrolled: 1-line block ×5, first 2 shown]
	v_fma_f64 v[86:87], v[14:15], s[44:45], s[22:23]
	s_mov_b32 s21, 0xbf0632d8
	s_mov_b32 s4, 0xd09274bd
	;; [unrolled: 1-line block ×8, first 2 shown]
	v_fma_f64 v[70:71], v[14:15], v[70:71], s[22:23]
	s_mov_b32 s29, 0x3e0e5da0
	v_fma_f64 v[18:19], v[14:15], v[18:19], s[24:25]
	s_mov_b32 s24, 0xfffb841e
	s_mov_b32 s25, 0x3d3d5f1c
	v_fma_f64 v[30:31], v[14:15], v[30:31], s[10:11]
	v_fma_f64 v[84:85], v[14:15], s[24:25], s[14:15]
	s_mov_b32 s14, 0x7a1dc93c
	s_mov_b32 s10, 0x41bc716c
	;; [unrolled: 1-line block ×4, first 2 shown]
	v_fma_f64 v[68:69], v[14:15], v[68:69], s[14:15]
	v_fma_f64 v[34:35], v[14:15], v[34:35], s[10:11]
	s_mov_b32 s10, 0xfd18807a
	s_mov_b32 s14, 0x2c71e7eb
	s_mov_b32 s11, 0xbdd82007
	s_mov_b32 s15, 0x3dc3296c
	v_fma_f64 v[82:83], v[14:15], v[82:83], s[10:11]
	s_mov_b32 s10, 0x9d5391e1
	s_mov_b32 s11, 0x3e67f976
	s_mov_b32 s16, 0x55f5a3c3
	v_fma_f64 v[66:67], v[14:15], v[66:67], s[56:57]
	v_fma_f64 v[86:87], v[14:15], v[86:87], s[28:29]
	s_mov_b32 s17, 0x3f4de2b3
	v_fma_f64 v[18:19], v[14:15], v[18:19], s[20:21]
	s_mov_b32 s20, 0xd588a416
	s_mov_b32 s21, 0x3e1bbfe4
	v_fma_f64 v[30:31], v[14:15], v[30:31], s[4:5]
	v_fma_f64 v[84:85], v[14:15], v[84:85], s[14:15]
	;; [unrolled: 1-line block ×3, first 2 shown]
	s_mov_b32 s4, 0x3d0d42f8
	s_mov_b32 s5, 0x3e6742e4
	;; [unrolled: 1-line block ×3, first 2 shown]
	v_fma_f64 v[68:69], v[14:15], v[68:69], s[10:11]
	v_fma_f64 v[34:35], v[14:15], v[34:35], s[4:5]
	s_mov_b32 s4, 0x10f96f47
	s_mov_b32 s10, 0xbd33a0f0
	;; [unrolled: 1-line block ×5, first 2 shown]
	v_fma_f64 v[82:83], v[14:15], v[82:83], s[4:5]
	s_mov_b32 s9, 0xbf57c9b6
	s_mov_b32 s15, 0xbe57230a
	;; [unrolled: 1-line block ×5, first 2 shown]
	v_fma_f64 v[18:19], v[14:15], v[18:19], s[16:17]
	s_mov_b32 s16, 0x4564d772
	s_mov_b32 s17, 0xbe85a1ee
	v_fma_f64 v[30:31], v[14:15], v[30:31], s[8:9]
	v_fma_f64 v[84:85], v[14:15], v[84:85], s[10:11]
	;; [unrolled: 1-line block ×4, first 2 shown]
	s_mov_b32 s8, 0xddb913c3
	s_mov_b32 s9, 0xbe99ae46
	v_fma_f64 v[68:69], v[14:15], v[68:69], s[4:5]
	v_fma_f64 v[34:35], v[14:15], v[34:35], s[8:9]
	s_mov_b32 s18, 0x9b5c090c
	s_mov_b32 s47, 0xbe9a90d0
	;; [unrolled: 1-line block ×4, first 2 shown]
	v_fma_f64 v[66:67], v[14:15], v[66:67], s[46:47]
	s_mov_b32 s4, 0x20d37cd2
	s_mov_b32 s8, 0x829ef51f
	v_fma_f64 v[86:87], v[14:15], v[86:87], s[18:19]
	s_mov_b32 s13, 0xbf8f3a50
	s_mov_b32 s5, 0xbe62c630
	;; [unrolled: 1-line block ×4, first 2 shown]
	v_fma_f64 v[96:97], v[14:15], v[18:19], s[12:13]
	s_mov_b32 s10, 0xf841125a
	s_mov_b32 s12, 0x3078ad67
	v_fma_f64 v[82:83], v[14:15], v[82:83], s[4:5]
	v_fma_f64 v[84:85], v[14:15], v[84:85], s[8:9]
	s_mov_b32 s7, 0x3f91c204
	s_mov_b32 s11, 0x3e922e99
	;; [unrolled: 1-line block ×4, first 2 shown]
	v_fma_f64 v[80:81], v[14:15], v[80:81], s[10:11]
	v_fma_f64 v[70:71], v[14:15], v[70:71], s[12:13]
	;; [unrolled: 1-line block ×3, first 2 shown]
	s_mov_b32 s6, 0x433e4762
	s_mov_b32 s5, 0x3ece9854
	s_mov_b32 s7, 0x3ec8ffa6
	v_fma_f64 v[68:69], v[14:15], v[68:69], s[4:5]
	v_fma_f64 v[34:35], v[14:15], v[34:35], s[6:7]
	s_mov_b32 s42, 0xe2c0aa1f
	s_mov_b32 s4, 0x965b6a18
	s_mov_b32 s43, 0xbf19233b
	s_mov_b32 s5, 0xbe81cb7b
	v_fma_f64 v[66:67], v[14:15], v[66:67], s[42:43]
	v_fma_f64 v[86:87], v[14:15], v[86:87], s[4:5]
	s_mov_b32 s4, 0x623e8645
	;; [unrolled: 6-line block ×13, first 2 shown]
	s_mov_b32 s5, 0x3f841988
	s_mov_b32 s8, 0xe3b29da2
	v_fma_f64 v[86:87], v[14:15], v[86:87], s[4:5]
	s_mov_b32 s4, 0x3517b985
	s_mov_b32 s5, 0x3fa819df
	s_mov_b32 s9, 0x3f4a39b8
	s_mov_b32 s40, 0x9cb9ecc8
	v_fma_f64 v[82:83], v[14:15], v[82:83], s[4:5]
	v_fma_f64 v[84:85], v[14:15], v[84:85], s[8:9]
	s_mov_b32 s4, 0xa154e86b
	s_mov_b32 s8, 0x4428b880
	s_mov_b32 s5, 0x3f690caa
	s_mov_b32 s9, 0x3f74395f
	v_fma_f64 v[80:81], v[14:15], v[80:81], s[4:5]
	;; [unrolled: 6-line block ×3, first 2 shown]
	v_fma_f64 v[34:35], v[14:15], v[34:35], s[8:9]
	s_mov_b32 s4, 0xbe37c1b7
	s_mov_b32 s5, 0xbfcc8d15
	;; [unrolled: 1-line block ×3, first 2 shown]
	v_fma_f64 v[86:87], v[14:15], v[86:87], s[4:5]
	s_mov_b32 s4, 0x54ffbc1e
	s_mov_b32 s5, 0xbff7990d
	;; [unrolled: 1-line block ×4, first 2 shown]
	v_fma_f64 v[82:83], v[14:15], v[82:83], s[4:5]
	v_fma_f64 v[84:85], v[14:15], v[84:85], s[8:9]
	s_mov_b32 s4, 0x8e5e2866
	s_mov_b32 s8, 0xba2f0395
	;; [unrolled: 1-line block ×4, first 2 shown]
	v_fma_f64 v[30:31], v[14:15], v[96:97], s[40:41]
	v_fma_f64 v[96:97], v[14:15], v[80:81], s[4:5]
	;; [unrolled: 1-line block ×3, first 2 shown]
	s_mov_b32 s4, 0xd182328c
	s_mov_b32 s8, 0x240042a4
	s_mov_b32 s5, 0xbf8a4619
	s_mov_b32 s9, 0xbf71ee84
	v_fma_f64 v[113:114], v[14:15], v[68:69], s[4:5]
	v_fma_f64 v[115:116], v[14:15], v[34:35], s[8:9]
	s_mov_b32 s6, 0xf38ae2dc
	s_mov_b32 s4, 0x63983196
	s_mov_b32 s7, 0x3fe4af93
	s_mov_b32 s5, 0x4001b784
	v_fma_f64 v[34:35], v[14:15], v[66:67], s[6:7]
	v_fma_f64 v[66:67], v[14:15], v[86:87], s[4:5]
	;; [unrolled: 6-line block ×5, first 2 shown]
	v_readlane_b32 s62, v124, 6
	v_readlane_b32 s56, v124, 4
	;; [unrolled: 1-line block ×4, first 2 shown]
.LBB0_33:
	s_or_b32 exec_lo, exec_lo, s60
                                        ; implicit-def: $vgpr14_vgpr15
.LBB0_34:
	s_andn2_saveexec_b32 s40, s35
	s_cbranch_execz .LBB0_36
; %bb.35:
	s_mov_b32 s4, 0xceeef7be
	s_mov_b32 s6, 0x4c4b2782
	;; [unrolled: 1-line block ×8, first 2 shown]
	v_fma_f64 v[18:19], v[14:15], s[6:7], s[4:5]
	v_fma_f64 v[30:31], v[14:15], s[10:11], s[8:9]
	s_mov_b32 s6, 0x3589962d
	s_mov_b32 s10, 0xbf3f1436
	;; [unrolled: 1-line block ×9, first 2 shown]
	v_fma_f64 v[34:35], v[14:15], s[28:29], s[26:27]
	s_mov_b32 s24, 0xf7160490
	s_mov_b32 s23, 0x3ea148ba
	;; [unrolled: 1-line block ×8, first 2 shown]
	v_fma_f64 v[66:67], v[14:15], s[44:45], s[28:29]
	s_mov_b32 s28, 0x46fe9666
	v_fma_f64 v[18:19], v[14:15], v[18:19], s[6:7]
	v_fma_f64 v[30:31], v[14:15], v[30:31], s[10:11]
	s_mov_b32 s44, 0x745b8191
	s_mov_b32 s47, 0x3ea30304
	s_mov_b32 s29, 0xbe64aadf
	s_mov_b32 s45, 0x3ea6a0a8
	v_fma_f64 v[68:69], v[14:15], s[28:29], s[46:47]
	s_mov_b32 s16, 0x43a5c722
	s_mov_b32 s18, 0x903a3c3a
	s_mov_b32 s17, 0xbee375ce
	s_mov_b32 s19, 0xbf0fd69f
	;; [unrolled: 5-line block ×3, first 2 shown]
	s_mov_b32 s28, 0xe02f210d
	v_fma_f64 v[70:71], v[14:15], s[42:43], s[20:21]
	s_mov_b32 s42, 0xc528cf1f
	s_mov_b32 s44, 0xed4ebe4d
	;; [unrolled: 1-line block ×4, first 2 shown]
	v_fma_f64 v[18:19], v[14:15], v[18:19], s[22:23]
	v_fma_f64 v[30:31], v[14:15], v[30:31], s[24:25]
	s_mov_b32 s45, 0xbeba6ab9
	v_fma_f64 v[80:81], v[14:15], s[42:43], s[28:29]
	v_fma_f64 v[66:67], v[14:15], v[66:67], s[44:45]
	s_mov_b32 s28, 0x14e7bfe6
	s_mov_b32 s42, 0xc8379b4f
	s_mov_b32 s29, 0xbed72ad5
	s_mov_b32 s43, 0xbed8d265
	v_fma_f64 v[68:69], v[14:15], v[68:69], s[28:29]
	s_mov_b32 s12, 0x5edbfbbb
	v_fma_f64 v[34:35], v[14:15], v[34:35], s[42:43]
	s_mov_b32 s14, 0x8439ef03
	s_mov_b32 s13, 0x3f23e55d
	;; [unrolled: 1-line block ×10, first 2 shown]
	v_fma_f64 v[18:19], v[14:15], v[18:19], s[16:17]
	v_fma_f64 v[30:31], v[14:15], v[30:31], s[18:19]
	;; [unrolled: 1-line block ×3, first 2 shown]
	s_mov_b32 s24, 0xb8461e0b
	s_mov_b32 s25, 0x3e530947
	;; [unrolled: 1-line block ×10, first 2 shown]
	v_fma_f64 v[86:87], v[14:15], s[20:21], s[18:19]
	s_mov_b32 s27, 0xbf140e9b
	s_mov_b32 s22, 0xe8ecc2e5
	;; [unrolled: 1-line block ×5, first 2 shown]
	v_fma_f64 v[18:19], v[14:15], v[18:19], s[12:13]
	v_fma_f64 v[30:31], v[14:15], v[30:31], s[14:15]
	s_mov_b32 s12, 0xe8962c67
	s_mov_b32 s14, 0x6a8f6b14
	s_mov_b32 s13, 0x3e64e3e3
	s_mov_b32 s15, 0xbe21821b
	v_fma_f64 v[70:71], v[14:15], v[70:71], s[26:27]
	v_fma_f64 v[82:83], v[14:15], s[14:15], s[12:13]
	s_mov_b32 s12, 0xaa862d0d
	s_mov_b32 s14, 0x3fd6426b
	s_mov_b32 s13, 0x3ebae460
	s_mov_b32 s15, 0x3eee6de9
	;; [unrolled: 6-line block ×3, first 2 shown]
	v_fma_f64 v[68:69], v[14:15], v[68:69], s[12:13]
	v_fma_f64 v[34:35], v[14:15], v[34:35], s[14:15]
	;; [unrolled: 1-line block ×4, first 2 shown]
	s_mov_b32 s8, 0x993fd021
	s_mov_b32 s10, 0x389b40bf
	s_mov_b32 s9, 0xbe432a32
	s_mov_b32 s11, 0xbea3a061
	v_fma_f64 v[84:85], v[14:15], s[8:9], s[24:25]
	v_fma_f64 v[82:83], v[14:15], v[82:83], s[10:11]
	s_mov_b32 s8, 0xeec59c68
	s_mov_b32 s10, 0x38fc636d
	s_mov_b32 s9, 0xbef1436c
	s_mov_b32 s11, 0xbf1f287b
	v_fma_f64 v[80:81], v[14:15], v[80:81], s[8:9]
	v_fma_f64 v[66:67], v[14:15], v[66:67], s[10:11]
	;; [unrolled: 6-line block ×3, first 2 shown]
	v_fma_f64 v[70:71], v[14:15], v[70:71], s[22:23]
	s_mov_b32 s8, 0x3f98a1bf
	v_fma_f64 v[18:19], v[14:15], v[18:19], s[4:5]
	v_fma_f64 v[30:31], v[14:15], v[30:31], s[6:7]
	s_mov_b32 s4, 0x90762e0f
	s_mov_b32 s6, 0xda4c23fe
	s_mov_b32 s5, 0x3ec981f8
	s_mov_b32 s7, 0x3ee169b9
	v_fma_f64 v[84:85], v[14:15], v[84:85], s[4:5]
	v_fma_f64 v[82:83], v[14:15], v[82:83], s[6:7]
	s_mov_b32 s4, 0xe2a6b054
	s_mov_b32 s6, 0xccaccc5f
	s_mov_b32 s5, 0x3f242a2a
	;; [unrolled: 6-line block ×4, first 2 shown]
	v_fma_f64 v[86:87], v[14:15], v[86:87], s[4:5]
	s_mov_b32 s4, 0x231b8ea3
	s_mov_b32 s5, 0x3f1bbda8
	s_mov_b32 s7, 0xbf1dadf5
	s_mov_b32 s9, 0x3f586eeb
	v_fma_f64 v[84:85], v[14:15], v[84:85], s[4:5]
	v_fma_f64 v[82:83], v[14:15], v[82:83], s[6:7]
	s_mov_b32 s4, 0x2f9303bd
	s_mov_b32 s6, 0x6d3645be
	s_mov_b32 s5, 0xbf551c50
	s_mov_b32 s7, 0xbf756ac5
	v_fma_f64 v[80:81], v[14:15], v[80:81], s[4:5]
	;; [unrolled: 6-line block ×3, first 2 shown]
	v_fma_f64 v[34:35], v[14:15], v[34:35], s[6:7]
	s_mov_b32 s4, 0xc1d96d0
	s_mov_b32 s5, 0x3f84ba5c
	v_fma_f64 v[70:71], v[14:15], v[70:71], s[16:17]
	v_fma_f64 v[86:87], v[14:15], v[86:87], s[4:5]
	s_mov_b32 s4, 0xba7c0c6
	s_mov_b32 s5, 0x3fa78891
	s_mov_b32 s6, 0xedde43db
	s_mov_b32 s7, 0x3feb6f60
	v_fma_f64 v[84:85], v[14:15], v[84:85], s[4:5]
	v_fma_f64 v[82:83], v[14:15], v[82:83], s[8:9]
	s_mov_b32 s4, 0xddeb36a3
	s_mov_b32 s8, 0x153a8980
	s_mov_b32 s5, 0x3f833a5d
	s_mov_b32 s9, 0x3f9ab625
	v_fma_f64 v[80:81], v[14:15], v[80:81], s[4:5]
	v_fma_f64 v[66:67], v[14:15], v[66:67], s[8:9]
	s_mov_b32 s4, 0xdf0a51a1
	s_mov_b32 s8, 0xee9da396
	s_mov_b32 s5, 0x3fa36d9a
	s_mov_b32 s9, 0x3f99b0ed
	v_fma_f64 v[68:69], v[14:15], v[68:69], s[4:5]
	v_fma_f64 v[34:35], v[14:15], v[34:35], s[8:9]
	s_mov_b32 s4, 0x15431027
	s_mov_b32 s5, 0xbfd21fd7
	s_mov_b32 s8, 0xf1c7928c
	v_fma_f64 v[86:87], v[14:15], v[86:87], s[4:5]
	s_mov_b32 s4, 0x25c8e995
	s_mov_b32 s5, 0xbffc0fad
	s_mov_b32 s9, 0xbf9428c3
	v_fma_f64 v[84:85], v[14:15], v[84:85], s[4:5]
	v_fma_f64 v[82:83], v[14:15], v[82:83], s[8:9]
	s_mov_b32 s4, 0x93c0183a
	s_mov_b32 s8, 0xe81b4aff
	s_mov_b32 s5, 0xbfacc2ce
	s_mov_b32 s9, 0xbfb8dc8b
	v_fma_f64 v[96:97], v[14:15], v[80:81], s[4:5]
	v_fma_f64 v[113:114], v[14:15], v[66:67], s[8:9]
	s_mov_b32 s4, 0x534825a2
	;; [unrolled: 6-line block ×3, first 2 shown]
	s_mov_b32 s5, 0x4007c9ca
	v_fma_f64 v[34:35], v[14:15], v[70:71], s[6:7]
	v_fma_f64 v[66:67], v[14:15], v[86:87], s[4:5]
	s_mov_b32 s4, 0xa0cc44f7
	s_mov_b32 s6, 0x7014d6a9
	s_mov_b32 s5, 0x40326a49
	s_mov_b32 s7, 0x3fd2e9de
	v_fma_f64 v[68:69], v[14:15], v[84:85], s[4:5]
	v_fma_f64 v[80:81], v[14:15], v[82:83], s[6:7]
	s_mov_b32 s4, 0x7a559b9e
	s_mov_b32 s6, 0x9d00bbc3
	s_mov_b32 s5, 0x3fd13baa
	;; [unrolled: 6-line block ×3, first 2 shown]
	s_mov_b32 s7, 0x3fb1115f
	v_fma_f64 v[84:85], v[14:15], v[115:116], s[4:5]
	v_fma_f64 v[82:83], v[14:15], v[117:118], s[6:7]
.LBB0_36:
	s_or_b32 exec_lo, exec_lo, s40
                                        ; implicit-def: $vgpr14_vgpr15
.LBB0_37:
	s_andn2_saveexec_b32 s4, s34
	s_cbranch_execz .LBB0_39
; %bb.38:
	s_mov_b32 s6, 0x96777b17
	s_mov_b32 s8, 0x97367277
	s_mov_b32 s10, 0x911e2d57
	s_mov_b32 s12, 0x7ab464a1
	s_mov_b32 s7, 0x3f9735bc
	s_mov_b32 s9, 0xbf61af09
	s_mov_b32 s11, 0x3fcd9a4f
	s_mov_b32 s13, 0xbf968df3
	v_fma_f64 v[18:19], v[14:15], s[8:9], s[6:7]
	v_fma_f64 v[30:31], v[14:15], s[12:13], s[10:11]
	s_mov_b32 s6, 0xedde45dc
	s_mov_b32 s8, 0x478ad91d
	s_mov_b32 s10, 0x4be77340
	s_mov_b32 s12, 0x15450605
	s_mov_b32 s7, 0x3feb6f60
	s_mov_b32 s9, 0xbfb4e725
	s_mov_b32 s11, 0x4007c9ca
	s_mov_b32 s13, 0xbfd21fd7
	v_fma_f64 v[34:35], v[14:15], s[8:9], s[6:7]
	v_fma_f64 v[66:67], v[14:15], s[12:13], s[10:11]
	;; [unrolled: 10-line block ×5, first 2 shown]
.LBB0_39:
	s_or_b32 exec_lo, exec_lo, s4
	buffer_store_dword v19, off, s[0:3], s33 offset:180
	buffer_store_dword v18, off, s[0:3], s33 offset:176
	;; [unrolled: 1-line block ×20, first 2 shown]
.LBB0_40:
	s_or_b32 exec_lo, exec_lo, s31
                                        ; implicit-def: $vgpr14_vgpr15
.LBB0_41:
	s_andn2_saveexec_b32 s72, s30
	s_cbranch_execz .LBB0_81
; %bb.42:
	buffer_load_dword v18, off, s[0:3], s33 offset:720 ; 4-byte Folded Reload
	s_mov_b32 s73, exec_lo
	s_waitcnt vmcnt(0)
	v_cmpx_eq_u32_e32 3, v18
	s_cbranch_execz .LBB0_80
; %bb.43:
	s_mov_b32 s4, 0xf40d8376
	s_mov_b32 s5, 0x3e9421f5
                                        ; implicit-def: $vgpr68_vgpr69
                                        ; implicit-def: $vgpr70_vgpr71
                                        ; implicit-def: $vgpr80_vgpr81
                                        ; implicit-def: $vgpr84_vgpr85
                                        ; implicit-def: $vgpr66_vgpr67
                                        ; implicit-def: $vgpr34_vgpr35
                                        ; implicit-def: $vgpr30_vgpr31
                                        ; implicit-def: $vgpr18_vgpr19
	v_cmp_ge_f64_e32 vcc_lo, s[4:5], v[14:15]
	s_and_saveexec_b32 s4, vcc_lo
	s_xor_b32 s4, exec_lo, s4
	s_cbranch_execz .LBB0_45
; %bb.44:
	s_mov_b32 s6, 0xe05c2661
	s_mov_b32 s8, 0xb50b683f
	s_mov_b32 s10, 0xc54950d9
	s_mov_b32 s12, 0x14031eb8
	s_mov_b32 s7, 0x3fa1d3e9
	s_mov_b32 s9, 0xbf70c772
	s_mov_b32 s11, 0x3fd86b98
	s_mov_b32 s13, 0xbfa6fbdb
	v_fma_f64 v[18:19], v[14:15], s[8:9], s[6:7]
	v_fma_f64 v[30:31], v[14:15], s[12:13], s[10:11]
	s_mov_b32 s6, 0xb516dd81
	s_mov_b32 s8, 0xf5c7ac84
	s_mov_b32 s10, 0xf9527da2
	s_mov_b32 s12, 0x904d2a98
	s_mov_b32 s7, 0x3ffbcc02
	s_mov_b32 s9, 0xbfca296b
	s_mov_b32 s11, 0x4027b14e
	s_mov_b32 s13, 0xbff64c86
	v_fma_f64 v[34:35], v[14:15], s[8:9], s[6:7]
	v_fma_f64 v[66:67], v[14:15], s[12:13], s[10:11]
	;; [unrolled: 10-line block ×4, first 2 shown]
                                        ; implicit-def: $vgpr14_vgpr15
.LBB0_45:
	s_andn2_saveexec_b32 s74, s4
	s_cbranch_execz .LBB0_79
; %bb.46:
                                        ; implicit-def: $vgpr68_vgpr69
                                        ; implicit-def: $vgpr70_vgpr71
                                        ; implicit-def: $vgpr80_vgpr81
                                        ; implicit-def: $vgpr84_vgpr85
                                        ; implicit-def: $vgpr66_vgpr67
                                        ; implicit-def: $vgpr34_vgpr35
                                        ; implicit-def: $vgpr30_vgpr31
                                        ; implicit-def: $vgpr18_vgpr19
	s_mov_b32 s4, exec_lo
	v_cmpx_ge_f64_e32 1.0, v[14:15]
	s_xor_b32 s12, exec_lo, s4
	s_cbranch_execz .LBB0_48
; %bb.47:
	s_mov_b32 s4, 0x68d3e601
	s_mov_b32 s8, 0x6b3dbd1d
	s_mov_b32 s5, 0xbe75545a
	s_mov_b32 s9, 0x3e3575d3
	s_mov_b32 s6, 0x76bd8a7f
	v_fma_f64 v[30:31], v[14:15], s[8:9], s[4:5]
	s_mov_b32 s10, 0x9d85fffc
	s_mov_b32 s7, 0x3e3652e2
	s_mov_b32 s11, 0xbdead7d8
	s_mov_b32 s8, 0x22c493a0
	v_fma_f64 v[18:19], v[14:15], s[10:11], s[6:7]
	s_mov_b32 s6, 0xf147f33e
	s_mov_b32 s7, 0x3e7194df
	s_mov_b32 s9, 0xbe31aeea
	s_mov_b32 s10, 0x4518e97f
	s_mov_b32 s14, 0x4f804dda
	v_fma_f64 v[34:35], v[14:15], s[8:9], s[6:7]
	s_mov_b32 s6, 0x765b434a
	s_mov_b32 s11, 0x3ea10526
	s_mov_b32 s15, 0xbe625821
	s_mov_b32 s7, 0x3eac0c63
	v_fma_f64 v[66:67], v[14:15], s[14:15], s[10:11]
	;; [unrolled: 11-line block ×4, first 2 shown]
	s_mov_b32 s18, 0x61bd7af1
	s_mov_b32 s19, 0x3e1e74e1
	;; [unrolled: 1-line block ×5, first 2 shown]
	v_fma_f64 v[30:31], v[14:15], v[30:31], s[16:17]
	s_mov_b32 s16, 0xefdfc5fa
	s_mov_b32 s17, 0x3e621129
	s_mov_b32 s5, 0xbf70c772
	v_fma_f64 v[68:69], v[14:15], s[18:19], s[16:17]
	v_fma_f64 v[18:19], v[14:15], v[18:19], s[6:7]
	s_mov_b32 s16, 0x7f5727f9
	s_mov_b32 s18, 0xf8c220a0
	s_mov_b32 s17, 0xbe489ee9
	s_mov_b32 s19, 0x3edd1966
	v_fma_f64 v[70:71], v[14:15], s[16:17], s[20:21]
	v_fma_f64 v[34:35], v[14:15], v[34:35], s[18:19]
	s_mov_b32 s16, 0x555d215d
	;; [unrolled: 6-line block ×3, first 2 shown]
	s_mov_b32 s7, 0xbe6e20eb
	s_mov_b32 s14, 0x9d2f3618
	;; [unrolled: 1-line block ×3, first 2 shown]
	v_fma_f64 v[30:31], v[14:15], v[30:31], s[16:17]
	s_mov_b32 s16, 0xde201477
	s_mov_b32 s17, 0xbe90be0b
	v_fma_f64 v[82:83], v[14:15], s[6:7], s[16:17]
	v_fma_f64 v[18:19], v[14:15], v[18:19], s[8:9]
	s_mov_b32 s8, 0xf734861
	s_mov_b32 s9, 0xbe915646
	;; [unrolled: 1-line block ×3, first 2 shown]
	v_fma_f64 v[68:69], v[14:15], v[68:69], s[8:9]
	s_mov_b32 s7, 0xbf0fbd1b
	s_mov_b32 s8, 0xacfee078
	v_fma_f64 v[70:71], v[14:15], v[70:71], s[14:15]
	v_fma_f64 v[34:35], v[14:15], v[34:35], s[6:7]
	s_mov_b32 s6, 0x3c6a4ac7
	s_mov_b32 s9, 0xbf34300e
	s_mov_b32 s7, 0xbf3956d6
	v_fma_f64 v[66:67], v[14:15], v[66:67], s[8:9]
	s_mov_b32 s8, 0x8b4cb716
	s_mov_b32 s9, 0x3eccc30b
	v_fma_f64 v[30:31], v[14:15], v[30:31], s[6:7]
	s_mov_b32 s6, 0x32168329
	s_mov_b32 s7, 0x3eb552d3
	v_fma_f64 v[80:81], v[14:15], v[80:81], s[6:7]
	v_fma_f64 v[18:19], v[14:15], v[18:19], s[10:11]
	s_mov_b32 s6, 0x8d7f7a06
	s_mov_b32 s7, 0xbee7d543
	v_fma_f64 v[82:83], v[14:15], v[82:83], s[8:9]
	v_fma_f64 v[68:69], v[14:15], v[68:69], s[6:7]
	s_mov_b32 s6, 0x986bedbd
	s_mov_b32 s8, 0x477fa72
	;; [unrolled: 1-line block ×4, first 2 shown]
	v_fma_f64 v[70:71], v[14:15], v[70:71], s[6:7]
	v_fma_f64 v[34:35], v[14:15], v[34:35], s[8:9]
	s_mov_b32 s6, 0x40349659
	s_mov_b32 s8, 0x1c8c06c7
	;; [unrolled: 1-line block ×4, first 2 shown]
	v_fma_f64 v[66:67], v[14:15], v[66:67], s[6:7]
	s_mov_b32 s6, 0x3234424f
	v_fma_f64 v[30:31], v[14:15], v[30:31], s[8:9]
	s_mov_b32 s7, 0xbf2293aa
	s_mov_b32 s8, 0x5db0026d
	s_mov_b32 s9, 0x3fa82e57
	v_fma_f64 v[80:81], v[14:15], v[80:81], s[6:7]
	v_fma_f64 v[18:19], v[14:15], v[18:19], s[4:5]
	s_mov_b32 s4, 0xe3f849c1
	s_mov_b32 s6, 0x6be0ad34
	s_mov_b32 s5, 0xbf14bfff
	s_mov_b32 s7, 0x3f2601d0
	v_fma_f64 v[68:69], v[14:15], v[68:69], s[4:5]
	v_fma_f64 v[82:83], v[14:15], v[82:83], s[6:7]
	s_mov_b32 s4, 0x47591762
	;; [unrolled: 6-line block ×4, first 2 shown]
	s_mov_b32 s5, 0x3f6a6f77
	s_mov_b32 s6, 0xe05c2644
	v_fma_f64 v[80:81], v[14:15], v[80:81], s[4:5]
	s_mov_b32 s4, 0xaa590a67
	s_mov_b32 s5, 0x3f854376
	s_mov_b32 s7, 0x3fa1d3e9
	v_fma_f64 v[68:69], v[14:15], v[68:69], s[4:5]
	v_fma_f64 v[82:83], v[14:15], v[82:83], s[8:9]
	s_mov_b32 s4, 0xed7a0fb9
	s_mov_b32 s8, 0xd4b77643
	s_mov_b32 s5, 0x3f691ccb
	s_mov_b32 s9, 0x3f93a61e
	v_fma_f64 v[70:71], v[14:15], v[70:71], s[4:5]
	v_fma_f64 v[34:35], v[14:15], v[34:35], s[8:9]
	s_mov_b32 s4, 0x51b6839f
	;; [unrolled: 6-line block ×3, first 2 shown]
	s_mov_b32 s5, 0xbfa6fbdb
	s_mov_b32 s8, 0x904a15c2
	v_fma_f64 v[80:81], v[14:15], v[80:81], s[4:5]
	s_mov_b32 s4, 0xf5bb798d
	s_mov_b32 s5, 0xbfca296b
	;; [unrolled: 1-line block ×3, first 2 shown]
	v_fma_f64 v[18:19], v[14:15], v[18:19], s[6:7]
	v_fma_f64 v[68:69], v[14:15], v[68:69], s[4:5]
	;; [unrolled: 1-line block ×3, first 2 shown]
	s_mov_b32 s4, 0xbdc94f68
	s_mov_b32 s8, 0x94362a61
	;; [unrolled: 1-line block ×4, first 2 shown]
	v_fma_f64 v[70:71], v[14:15], v[70:71], s[4:5]
	v_fma_f64 v[86:87], v[14:15], v[34:35], s[8:9]
	s_mov_b32 s4, 0x9117f11f
	s_mov_b32 s8, 0x40055e3b
	;; [unrolled: 1-line block ×4, first 2 shown]
	v_fma_f64 v[96:97], v[14:15], v[66:67], s[4:5]
	v_fma_f64 v[113:114], v[14:15], v[30:31], s[8:9]
	s_mov_b32 s4, 0xc54950a3
	s_mov_b32 s5, 0x3fd86b98
	s_mov_b32 s6, 0xf9527c50
	v_fma_f64 v[30:31], v[14:15], v[80:81], s[4:5]
	s_mov_b32 s4, 0xb516dd27
	s_mov_b32 s5, 0x3ffbcc02
	;; [unrolled: 1-line block ×3, first 2 shown]
	v_fma_f64 v[34:35], v[14:15], v[68:69], s[4:5]
	v_fma_f64 v[66:67], v[14:15], v[82:83], s[6:7]
	s_mov_b32 s4, 0xb19915d
	s_mov_b32 s6, 0xa2555fe
	;; [unrolled: 1-line block ×4, first 2 shown]
	v_fma_f64 v[84:85], v[14:15], v[70:71], s[4:5]
	v_fma_f64 v[80:81], v[14:15], v[86:87], s[6:7]
	s_mov_b32 s4, 0x531d2ad0
	s_mov_b32 s6, 0x4ca0361
	;; [unrolled: 1-line block ×4, first 2 shown]
	v_fma_f64 v[70:71], v[14:15], v[96:97], s[4:5]
	v_fma_f64 v[68:69], v[14:15], v[113:114], s[6:7]
                                        ; implicit-def: $vgpr14_vgpr15
.LBB0_48:
	s_andn2_saveexec_b32 s75, s12
	s_cbranch_execz .LBB0_78
; %bb.49:
                                        ; implicit-def: $vgpr68_vgpr69
                                        ; implicit-def: $vgpr70_vgpr71
                                        ; implicit-def: $vgpr80_vgpr81
                                        ; implicit-def: $vgpr84_vgpr85
                                        ; implicit-def: $vgpr66_vgpr67
                                        ; implicit-def: $vgpr34_vgpr35
                                        ; implicit-def: $vgpr30_vgpr31
                                        ; implicit-def: $vgpr18_vgpr19
	s_mov_b32 s4, exec_lo
	v_cmpx_ge_f64_e32 0x40140000, v[14:15]
	s_xor_b32 s12, exec_lo, s4
	s_cbranch_execz .LBB0_51
; %bb.50:
	v_add_f64 v[14:15], 0xc0080000, v[14:15]
	s_mov_b32 s4, 0xcdf599fb
	s_mov_b32 s8, 0xaf46b5bf
	;; [unrolled: 1-line block ×21, first 2 shown]
	v_fma_f64 v[30:31], v[14:15], s[8:9], s[4:5]
	v_fma_f64 v[18:19], v[14:15], s[10:11], s[6:7]
	s_mov_b32 s6, 0xe80b5ba2
	s_mov_b32 s8, 0x7c85c3be
	s_mov_b32 s10, 0xf8b17c62
	s_mov_b32 s7, 0xbd43c788
	s_mov_b32 s9, 0x3d046b6a
	s_mov_b32 s11, 0xbd4faa74
	v_fma_f64 v[34:35], v[14:15], s[8:9], s[6:7]
	s_mov_b32 s4, 0xe14cfada
	s_mov_b32 s5, 0x3d91e4c5
	;; [unrolled: 1-line block ×6, first 2 shown]
	v_fma_f64 v[68:69], v[14:15], s[22:23], s[20:21]
	v_fma_f64 v[66:67], v[14:15], s[8:9], s[6:7]
	s_mov_b32 s6, 0x3d18a4de
	s_mov_b32 s7, 0x3d8be9e9
	;; [unrolled: 1-line block ×5, first 2 shown]
	v_fma_f64 v[30:31], v[14:15], v[30:31], s[10:11]
	v_fma_f64 v[18:19], v[14:15], v[18:19], s[4:5]
	s_mov_b32 s10, 0xd63d76dd
	s_mov_b32 s11, 0x3d80e1cf
	;; [unrolled: 1-line block ×6, first 2 shown]
	v_fma_f64 v[34:35], v[14:15], v[34:35], s[10:11]
	s_mov_b32 s10, 0xe17c5cbf
	s_mov_b32 s11, 0x3ea8798f
	v_fma_f64 v[66:67], v[14:15], v[66:67], s[14:15]
	s_mov_b32 s14, 0xb203580f
	s_mov_b32 s15, 0xbdc6e04f
	v_fma_f64 v[30:31], v[14:15], v[30:31], s[6:7]
	v_fma_f64 v[18:19], v[14:15], v[18:19], s[4:5]
	s_mov_b32 s4, 0xabb6c6ca
	s_mov_b32 s5, 0x3e219500
	;; [unrolled: 1-line block ×4, first 2 shown]
	v_fma_f64 v[34:35], v[14:15], v[34:35], s[16:17]
	s_mov_b32 s16, 0x16525ec
	s_mov_b32 s17, 0x3d431dd0
	v_fma_f64 v[66:67], v[14:15], v[66:67], s[24:25]
	v_fma_f64 v[30:31], v[14:15], v[30:31], s[14:15]
	;; [unrolled: 1-line block ×3, first 2 shown]
	s_mov_b32 s14, 0xe497324a
	s_mov_b32 s15, 0xbd843604
	;; [unrolled: 1-line block ×3, first 2 shown]
	v_fma_f64 v[70:71], v[14:15], s[16:17], s[14:15]
	s_mov_b32 s14, 0x64d1b2d2
	s_mov_b32 s15, 0xbd7316df
	v_fma_f64 v[34:35], v[14:15], v[34:35], s[26:27]
	s_mov_b32 s16, 0xa56bea5f
	s_mov_b32 s17, 0xbdaa16c4
	;; [unrolled: 1-line block ×3, first 2 shown]
	v_fma_f64 v[68:69], v[14:15], v[68:69], s[16:17]
	v_fma_f64 v[30:31], v[14:15], v[30:31], s[20:21]
	;; [unrolled: 1-line block ×3, first 2 shown]
	s_mov_b32 s8, 0x770ce8c1
	s_mov_b32 s20, 0xf7f20262
	s_mov_b32 s9, 0x3d61b0d0
	s_mov_b32 s21, 0x3dd1a219
	v_fma_f64 v[80:81], v[14:15], s[8:9], s[18:19]
	v_fma_f64 v[82:83], v[14:15], s[14:15], s[20:21]
	s_mov_b32 s8, 0xd8d5acb0
	s_mov_b32 s9, 0xbe037e42
	;; [unrolled: 1-line block ×3, first 2 shown]
	v_fma_f64 v[66:67], v[14:15], v[66:67], s[8:9]
	s_mov_b32 s8, 0x202f2840
	s_mov_b32 s15, 0xbe309802
	;; [unrolled: 1-line block ×3, first 2 shown]
	v_fma_f64 v[34:35], v[14:15], v[34:35], s[14:15]
	s_mov_b32 s14, 0xfb571d3b
	s_mov_b32 s15, 0x3de99881
	v_fma_f64 v[68:69], v[14:15], v[68:69], s[14:15]
	v_fma_f64 v[30:31], v[14:15], v[30:31], s[8:9]
	;; [unrolled: 1-line block ×3, first 2 shown]
	s_mov_b32 s8, 0x6b5bd8d9
	s_mov_b32 s9, 0xbd90cea0
	;; [unrolled: 1-line block ×3, first 2 shown]
	v_fma_f64 v[70:71], v[14:15], v[70:71], s[8:9]
	s_mov_b32 s8, 0xa98f2b0e
	s_mov_b32 s11, 0xbde45f4d
	s_mov_b32 s9, 0x3e09ea5a
	v_fma_f64 v[80:81], v[14:15], v[80:81], s[10:11]
	v_fma_f64 v[82:83], v[14:15], v[82:83], s[8:9]
	s_mov_b32 s8, 0xfe356336
	s_mov_b32 s9, 0x3e3e1780
	;; [unrolled: 1-line block ×3, first 2 shown]
	v_fma_f64 v[66:67], v[14:15], v[66:67], s[8:9]
	s_mov_b32 s8, 0xbe9add63
	s_mov_b32 s11, 0x3e66591d
	;; [unrolled: 1-line block ×3, first 2 shown]
	v_fma_f64 v[34:35], v[14:15], v[34:35], s[10:11]
	v_fma_f64 v[30:31], v[14:15], v[30:31], s[8:9]
	;; [unrolled: 1-line block ×3, first 2 shown]
	s_mov_b32 s6, 0x5130e4c4
	s_mov_b32 s7, 0x3e07846b
	;; [unrolled: 1-line block ×3, first 2 shown]
	v_fma_f64 v[70:71], v[14:15], v[70:71], s[6:7]
	s_mov_b32 s6, 0xf29a7cc2
	s_mov_b32 s7, 0xbe227fc8
	s_mov_b32 s9, 0xbe2302af
	v_fma_f64 v[80:81], v[14:15], v[80:81], s[6:7]
	v_fma_f64 v[82:83], v[14:15], v[82:83], s[8:9]
	s_mov_b32 s6, 0xc185d970
	s_mov_b32 s8, 0x51b8adc1
	s_mov_b32 s7, 0xbe280bf1
	s_mov_b32 s9, 0xbe75cc26
	v_fma_f64 v[68:69], v[14:15], v[68:69], s[6:7]
	v_fma_f64 v[66:67], v[14:15], v[66:67], s[8:9]
	s_mov_b32 s6, 0x98501698
	;; [unrolled: 6-line block ×3, first 2 shown]
	s_mov_b32 s7, 0xbe4681ca
	v_fma_f64 v[18:19], v[14:15], v[18:19], s[4:5]
	s_mov_b32 s4, 0xd957c93c
	v_fma_f64 v[70:71], v[14:15], v[70:71], s[6:7]
	s_mov_b32 s6, 0xab0781a2
	s_mov_b32 s5, 0x3e639e23
	s_mov_b32 s7, 0xbe837013
	v_fma_f64 v[80:81], v[14:15], v[80:81], s[4:5]
	v_fma_f64 v[82:83], v[14:15], v[82:83], s[6:7]
	s_mov_b32 s4, 0xfcb21465
	s_mov_b32 s6, 0xb3359e95
	s_mov_b32 s5, 0x3e66464d
	s_mov_b32 s7, 0x3ead71eb
	v_fma_f64 v[68:69], v[14:15], v[68:69], s[4:5]
	v_fma_f64 v[66:67], v[14:15], v[66:67], s[6:7]
	s_mov_b32 s4, 0xf6613800
	s_mov_b32 s6, 0x4be33120
	s_mov_b32 s5, 0x3ece893e
	s_mov_b32 s7, 0x3ed0a300
	v_fma_f64 v[34:35], v[14:15], v[34:35], s[4:5]
	v_fma_f64 v[30:31], v[14:15], v[30:31], s[6:7]
	s_mov_b32 s4, 0x88a357e9
	s_mov_b32 s5, 0x3e501d74
	s_mov_b32 s8, 0xc8244f84
	;; [unrolled: 1-line block ×3, first 2 shown]
	v_fma_f64 v[70:71], v[14:15], v[70:71], s[4:5]
	s_mov_b32 s4, 0x22aea77f
	s_mov_b32 s5, 0x3ea14fcd
	s_mov_b32 s6, 0xe7d9937a
	v_fma_f64 v[80:81], v[14:15], v[80:81], s[4:5]
	v_fma_f64 v[82:83], v[14:15], v[82:83], s[8:9]
	s_mov_b32 s4, 0x6b673eb1
	s_mov_b32 s8, 0x509c48de
	s_mov_b32 s5, 0xbea3e8e5
	s_mov_b32 s9, 0xbee268cf
	v_fma_f64 v[68:69], v[14:15], v[68:69], s[4:5]
	v_fma_f64 v[66:67], v[14:15], v[66:67], s[8:9]
	s_mov_b32 s4, 0xd415e2a9
	;; [unrolled: 6-line block ×3, first 2 shown]
	s_mov_b32 s5, 0x3ecd4379
	s_mov_b32 s8, 0xf0cc2e4a
	;; [unrolled: 1-line block ×3, first 2 shown]
	v_fma_f64 v[70:71], v[14:15], v[70:71], s[4:5]
	s_mov_b32 s4, 0x9f26c5e3
	s_mov_b32 s5, 0xbee3f918
	s_mov_b32 s7, 0xbf64bf4e
	v_fma_f64 v[80:81], v[14:15], v[80:81], s[4:5]
	v_fma_f64 v[82:83], v[14:15], v[82:83], s[8:9]
	s_mov_b32 s4, 0x5fee3715
	s_mov_b32 s8, 0xd3cbde63
	s_mov_b32 s5, 0x3ee12159
	s_mov_b32 s9, 0x3f15160c
	v_fma_f64 v[68:69], v[14:15], v[68:69], s[4:5]
	v_fma_f64 v[66:67], v[14:15], v[66:67], s[8:9]
	s_mov_b32 s4, 0xc6d27831
	s_mov_b32 s8, 0x8eb897f6
	s_mov_b32 s5, 0x3f2a4831
	s_mov_b32 s9, 0x3f24fc4c
	v_fma_f64 v[34:35], v[14:15], v[34:35], s[4:5]
	v_fma_f64 v[30:31], v[14:15], v[30:31], s[8:9]
	s_mov_b32 s4, 0xb27e6328
	s_mov_b32 s5, 0xbf1c7e57
	v_fma_f64 v[18:19], v[14:15], v[18:19], s[6:7]
	s_mov_b32 s6, 0xf7b45f31
	v_fma_f64 v[70:71], v[14:15], v[70:71], s[4:5]
	s_mov_b32 s4, 0x4bafc709
	s_mov_b32 s5, 0xbf2c624b
	s_mov_b32 s7, 0x3f2392e1
	v_fma_f64 v[80:81], v[14:15], v[80:81], s[4:5]
	v_fma_f64 v[82:83], v[14:15], v[82:83], s[6:7]
	s_mov_b32 s4, 0xca08ffc7
	s_mov_b32 s6, 0xa1526642
	s_mov_b32 s5, 0xbf1c9223
	s_mov_b32 s7, 0xbf45c349
	v_fma_f64 v[68:69], v[14:15], v[68:69], s[4:5]
	v_fma_f64 v[66:67], v[14:15], v[66:67], s[6:7]
	s_mov_b32 s4, 0x47cfe6cc
	;; [unrolled: 6-line block ×3, first 2 shown]
	s_mov_b32 s5, 0x3f610b19
	s_mov_b32 s8, 0xc76edd7a
	;; [unrolled: 1-line block ×3, first 2 shown]
	v_fma_f64 v[70:71], v[14:15], v[70:71], s[4:5]
	s_mov_b32 s4, 0x40f6c1c0
	s_mov_b32 s5, 0x3f828136
	s_mov_b32 s6, 0xd0ce077a
	v_fma_f64 v[80:81], v[14:15], v[80:81], s[4:5]
	v_fma_f64 v[82:83], v[14:15], v[82:83], s[8:9]
	s_mov_b32 s4, 0x8e8036bf
	s_mov_b32 s8, 0xc5a45ea5
	s_mov_b32 s5, 0x3f5728fb
	s_mov_b32 s9, 0x3f73b58d
	v_fma_f64 v[68:69], v[14:15], v[68:69], s[4:5]
	v_fma_f64 v[66:67], v[14:15], v[66:67], s[8:9]
	s_mov_b32 s4, 0x2eed2b86
	;; [unrolled: 6-line block ×3, first 2 shown]
	s_mov_b32 s5, 0xbf9dd1c9
	s_mov_b32 s8, 0xabfb28f0
	;; [unrolled: 1-line block ×3, first 2 shown]
	v_fma_f64 v[70:71], v[14:15], v[70:71], s[4:5]
	s_mov_b32 s4, 0x57bfcb5f
	s_mov_b32 s5, 0xbfc29fec
	s_mov_b32 s7, 0x3f99b902
	v_fma_f64 v[80:81], v[14:15], v[80:81], s[4:5]
	v_fma_f64 v[82:83], v[14:15], v[82:83], s[8:9]
	s_mov_b32 s4, 0x2fac9fb6
	s_mov_b32 s8, 0xddd252a0
	s_mov_b32 s5, 0xbf933584
	s_mov_b32 s9, 0xbf9d9781
	v_fma_f64 v[68:69], v[14:15], v[68:69], s[4:5]
	v_fma_f64 v[86:87], v[14:15], v[66:67], s[8:9]
	s_mov_b32 s4, 0x6c28b17a
	s_mov_b32 s8, 0x4b59bc3e
	s_mov_b32 s5, 0xbf95714e
	s_mov_b32 s9, 0xbf7d562f
	v_fma_f64 v[96:97], v[14:15], v[34:35], s[4:5]
	v_fma_f64 v[113:114], v[14:15], v[30:31], s[8:9]
	s_mov_b32 s4, 0x5e7c239f
	s_mov_b32 s5, 0x3fd16cfa
	v_fma_f64 v[18:19], v[14:15], v[18:19], s[6:7]
	s_mov_b32 s6, 0x7fbaaa3f
	v_fma_f64 v[30:31], v[14:15], v[70:71], s[4:5]
	s_mov_b32 s4, 0x8c65dbe
	s_mov_b32 s5, 0x3ff36e8e
	;; [unrolled: 1-line block ×3, first 2 shown]
	v_fma_f64 v[34:35], v[14:15], v[80:81], s[4:5]
	v_fma_f64 v[66:67], v[14:15], v[82:83], s[6:7]
	s_mov_b32 s4, 0x12c49f80
	s_mov_b32 s6, 0xee602011
	;; [unrolled: 1-line block ×4, first 2 shown]
	v_fma_f64 v[84:85], v[14:15], v[68:69], s[4:5]
	v_fma_f64 v[80:81], v[14:15], v[86:87], s[6:7]
	s_mov_b32 s4, 0xa5b47061
	s_mov_b32 s6, 0xf3bb9102
	;; [unrolled: 1-line block ×4, first 2 shown]
	v_fma_f64 v[70:71], v[14:15], v[96:97], s[4:5]
	v_fma_f64 v[68:69], v[14:15], v[113:114], s[6:7]
                                        ; implicit-def: $vgpr14_vgpr15
.LBB0_51:
	s_andn2_saveexec_b32 s76, s12
	s_cbranch_execz .LBB0_77
; %bb.52:
                                        ; implicit-def: $vgpr68_vgpr69
                                        ; implicit-def: $vgpr70_vgpr71
                                        ; implicit-def: $vgpr80_vgpr81
                                        ; implicit-def: $vgpr84_vgpr85
                                        ; implicit-def: $vgpr66_vgpr67
                                        ; implicit-def: $vgpr34_vgpr35
                                        ; implicit-def: $vgpr30_vgpr31
                                        ; implicit-def: $vgpr18_vgpr19
	s_mov_b32 s4, exec_lo
	v_cmpx_ge_f64_e32 0x40240000, v[14:15]
	s_xor_b32 s12, exec_lo, s4
	s_cbranch_execz .LBB0_54
; %bb.53:
	v_add_f64 v[14:15], 0xc01e0000, v[14:15]
	s_mov_b32 s4, 0x403745f
	s_mov_b32 s8, 0xb3b9451b
	;; [unrolled: 1-line block ×20, first 2 shown]
	v_fma_f64 v[30:31], v[14:15], s[8:9], s[4:5]
	v_fma_f64 v[18:19], v[14:15], s[10:11], s[6:7]
	s_mov_b32 s6, 0xa7f481ca
	s_mov_b32 s8, 0x876af24e
	;; [unrolled: 1-line block ×6, first 2 shown]
	v_fma_f64 v[34:35], v[14:15], s[8:9], s[6:7]
	s_mov_b32 s4, 0xb212e494
	s_mov_b32 s5, 0x3d585d02
	;; [unrolled: 1-line block ×5, first 2 shown]
	v_fma_f64 v[66:67], v[14:15], s[16:17], s[6:7]
	s_mov_b32 s6, 0x37a1331c
	s_mov_b32 s7, 0x3d2d780c
	;; [unrolled: 1-line block ×5, first 2 shown]
	v_fma_f64 v[30:31], v[14:15], v[30:31], s[10:11]
	v_fma_f64 v[18:19], v[14:15], v[18:19], s[4:5]
	s_mov_b32 s4, 0x85d0e282
	s_mov_b32 s5, 0xbdc017b5
	s_mov_b32 s10, 0x20b46e8f
	s_mov_b32 s11, 0x3e017d86
	v_fma_f64 v[34:35], v[14:15], v[34:35], s[18:19]
	s_mov_b32 s18, 0x1f1730cf
	s_mov_b32 s19, 0xbd124374
	v_fma_f64 v[68:69], v[14:15], s[18:19], s[16:17]
	s_mov_b32 s18, 0x2dde47eb
	s_mov_b32 s19, 0xbd3b2ea0
	;; [unrolled: 1-line block ×3, first 2 shown]
	v_fma_f64 v[66:67], v[14:15], v[66:67], s[18:19]
	s_mov_b32 s18, 0x8f063906
	s_mov_b32 s19, 0xbd68dd7b
	;; [unrolled: 1-line block ×3, first 2 shown]
	v_fma_f64 v[30:31], v[14:15], v[30:31], s[6:7]
	v_fma_f64 v[18:19], v[14:15], v[18:19], s[4:5]
	s_mov_b32 s6, 0xd8dcb6c0
	s_mov_b32 s7, 0xbed34e73
	;; [unrolled: 1-line block ×4, first 2 shown]
	v_fma_f64 v[34:35], v[14:15], v[34:35], s[22:23]
	s_mov_b32 s22, 0x943bf4a1
	s_mov_b32 s23, 0x3d337939
	v_fma_f64 v[80:81], v[14:15], s[24:25], s[22:23]
	v_fma_f64 v[30:31], v[14:15], v[30:31], s[18:19]
	v_fma_f64 v[18:19], v[14:15], v[18:19], s[10:11]
	s_mov_b32 s10, 0xcf82f6da
	s_mov_b32 s18, 0x6dff15b4
	;; [unrolled: 1-line block ×4, first 2 shown]
	v_fma_f64 v[70:71], v[14:15], s[10:11], s[16:17]
	v_fma_f64 v[68:69], v[14:15], v[68:69], s[18:19]
	s_mov_b32 s10, 0xde28b0e4
	s_mov_b32 s11, 0x3d7a86d1
	;; [unrolled: 1-line block ×3, first 2 shown]
	v_fma_f64 v[66:67], v[14:15], v[66:67], s[10:11]
	s_mov_b32 s10, 0xbb46bb88
	s_mov_b32 s17, 0x3da09d97
	;; [unrolled: 1-line block ×3, first 2 shown]
	v_fma_f64 v[34:35], v[14:15], v[34:35], s[16:17]
	s_mov_b32 s16, 0x6261858e
	s_mov_b32 s17, 0xbd701056
	v_fma_f64 v[80:81], v[14:15], v[80:81], s[16:17]
	v_fma_f64 v[30:31], v[14:15], v[30:31], s[10:11]
	v_fma_f64 v[18:19], v[14:15], v[18:19], s[14:15]
	s_mov_b32 s10, 0xed042746
	s_mov_b32 s11, 0x3d208cb6
	;; [unrolled: 1-line block ×3, first 2 shown]
	v_fma_f64 v[82:83], v[14:15], s[10:11], s[20:21]
	s_mov_b32 s10, 0xb9328db2
	s_mov_b32 s15, 0xbd87b644
	s_mov_b32 s11, 0xbde2f9ad
	v_fma_f64 v[70:71], v[14:15], v[70:71], s[14:15]
	v_fma_f64 v[68:69], v[14:15], v[68:69], s[10:11]
	s_mov_b32 s10, 0x6b0c0375
	s_mov_b32 s11, 0xbdb9a577
	;; [unrolled: 1-line block ×3, first 2 shown]
	v_fma_f64 v[66:67], v[14:15], v[66:67], s[10:11]
	s_mov_b32 s10, 0xae2dd57d
	s_mov_b32 s15, 0xbddaa302
	;; [unrolled: 1-line block ×3, first 2 shown]
	v_fma_f64 v[34:35], v[14:15], v[34:35], s[14:15]
	s_mov_b32 s14, 0xb7847367
	s_mov_b32 s15, 0x3daedc1c
	v_fma_f64 v[80:81], v[14:15], v[80:81], s[14:15]
	v_fma_f64 v[30:31], v[14:15], v[30:31], s[10:11]
	;; [unrolled: 1-line block ×3, first 2 shown]
	s_mov_b32 s8, 0xed268d58
	s_mov_b32 s9, 0xbdafce06
	;; [unrolled: 1-line block ×3, first 2 shown]
	v_fma_f64 v[82:83], v[14:15], v[82:83], s[8:9]
	s_mov_b32 s8, 0xfdfbd13
	s_mov_b32 s11, 0x3ddc3b74
	;; [unrolled: 1-line block ×3, first 2 shown]
	v_fma_f64 v[70:71], v[14:15], v[70:71], s[10:11]
	v_fma_f64 v[68:69], v[14:15], v[68:69], s[8:9]
	s_mov_b32 s8, 0xad173909
	s_mov_b32 s9, 0x3df78f8f
	;; [unrolled: 1-line block ×3, first 2 shown]
	v_fma_f64 v[66:67], v[14:15], v[66:67], s[8:9]
	s_mov_b32 s8, 0x257b4f04
	s_mov_b32 s11, 0x3e13ef3d
	;; [unrolled: 1-line block ×3, first 2 shown]
	v_fma_f64 v[34:35], v[14:15], v[34:35], s[10:11]
	v_fma_f64 v[30:31], v[14:15], v[30:31], s[8:9]
	;; [unrolled: 1-line block ×3, first 2 shown]
	s_mov_b32 s6, 0x6b39c22f
	s_mov_b32 s7, 0xbd9b0b55
	;; [unrolled: 1-line block ×3, first 2 shown]
	v_fma_f64 v[82:83], v[14:15], v[82:83], s[6:7]
	s_mov_b32 s6, 0x8e67176d
	s_mov_b32 s7, 0xbe04011e
	s_mov_b32 s9, 0x3e53cb4b
	v_fma_f64 v[70:71], v[14:15], v[70:71], s[6:7]
	v_fma_f64 v[68:69], v[14:15], v[68:69], s[8:9]
	s_mov_b32 s6, 0xa6274154
	s_mov_b32 s8, 0x2e6640f7
	s_mov_b32 s7, 0xbdf93c43
	s_mov_b32 s9, 0xbe342e4f
	v_fma_f64 v[80:81], v[14:15], v[80:81], s[6:7]
	v_fma_f64 v[66:67], v[14:15], v[66:67], s[8:9]
	s_mov_b32 s6, 0x8af8748a
	;; [unrolled: 6-line block ×3, first 2 shown]
	s_mov_b32 s7, 0x3e0d26d9
	v_fma_f64 v[18:19], v[14:15], v[18:19], s[4:5]
	s_mov_b32 s4, 0xfe07d3c7
	v_fma_f64 v[82:83], v[14:15], v[82:83], s[6:7]
	s_mov_b32 s6, 0xb9d9cc81
	s_mov_b32 s5, 0xbe60f70e
	s_mov_b32 s7, 0x3e9670a7
	v_fma_f64 v[70:71], v[14:15], v[70:71], s[4:5]
	v_fma_f64 v[68:69], v[14:15], v[68:69], s[6:7]
	s_mov_b32 s4, 0xa27737ed
	s_mov_b32 s6, 0x9992672
	s_mov_b32 s5, 0x3e3b588c
	s_mov_b32 s7, 0x3e70b256
	v_fma_f64 v[80:81], v[14:15], v[80:81], s[4:5]
	v_fma_f64 v[66:67], v[14:15], v[66:67], s[6:7]
	s_mov_b32 s4, 0x79f4c793
	s_mov_b32 s6, 0x32f3f303
	s_mov_b32 s5, 0x3e81b5bf
	s_mov_b32 s7, 0x3e766fd2
	v_fma_f64 v[34:35], v[14:15], v[34:35], s[4:5]
	v_fma_f64 v[30:31], v[14:15], v[30:31], s[6:7]
	s_mov_b32 s4, 0x955d1440
	s_mov_b32 s5, 0xbe706610
	s_mov_b32 s8, 0x19e9d2d6
	;; [unrolled: 1-line block ×3, first 2 shown]
	v_fma_f64 v[82:83], v[14:15], v[82:83], s[4:5]
	s_mov_b32 s4, 0x58e555b0
	s_mov_b32 s5, 0x3e9d0a28
	s_mov_b32 s6, 0x10610d72
	v_fma_f64 v[70:71], v[14:15], v[70:71], s[4:5]
	v_fma_f64 v[68:69], v[14:15], v[68:69], s[8:9]
	s_mov_b32 s4, 0x323c3fbb
	s_mov_b32 s8, 0xc1efbd65
	s_mov_b32 s5, 0xbe7be577
	s_mov_b32 s9, 0xbeaa45fe
	v_fma_f64 v[80:81], v[14:15], v[80:81], s[4:5]
	v_fma_f64 v[66:67], v[14:15], v[66:67], s[8:9]
	s_mov_b32 s4, 0x152d63f4
	;; [unrolled: 6-line block ×3, first 2 shown]
	s_mov_b32 s5, 0x3ec40fd6
	s_mov_b32 s8, 0x81a9eede
	s_mov_b32 s9, 0xbf13aad6
	v_fma_f64 v[82:83], v[14:15], v[82:83], s[4:5]
	s_mov_b32 s4, 0x58f2cb7a
	s_mov_b32 s5, 0x3ed45eea
	s_mov_b32 s7, 0xbf569b6e
	v_fma_f64 v[70:71], v[14:15], v[70:71], s[4:5]
	v_fma_f64 v[68:69], v[14:15], v[68:69], s[8:9]
	s_mov_b32 s4, 0xedc1a53a
	s_mov_b32 s8, 0x233f9f80
	s_mov_b32 s5, 0x3ec06f21
	s_mov_b32 s9, 0x3ee30e20
	v_fma_f64 v[80:81], v[14:15], v[80:81], s[4:5]
	v_fma_f64 v[66:67], v[14:15], v[66:67], s[8:9]
	s_mov_b32 s4, 0xc19427e2
	;; [unrolled: 6-line block ×3, first 2 shown]
	s_mov_b32 s5, 0xbf0c17e2
	v_fma_f64 v[18:19], v[14:15], v[18:19], s[6:7]
	s_mov_b32 s6, 0xb2f49001
	v_fma_f64 v[82:83], v[14:15], v[82:83], s[4:5]
	s_mov_b32 s4, 0xf0044b1a
	s_mov_b32 s5, 0xbf30afc7
	s_mov_b32 s7, 0xbf44876d
	v_fma_f64 v[70:71], v[14:15], v[70:71], s[4:5]
	v_fma_f64 v[68:69], v[14:15], v[68:69], s[6:7]
	s_mov_b32 s4, 0x2130cb3
	s_mov_b32 s6, 0xdaff5340
	s_mov_b32 s5, 0xbf017bd3
	s_mov_b32 s7, 0xbf19db67
	v_fma_f64 v[80:81], v[14:15], v[80:81], s[4:5]
	v_fma_f64 v[66:67], v[14:15], v[66:67], s[6:7]
	s_mov_b32 s4, 0x324b635f
	;; [unrolled: 6-line block ×3, first 2 shown]
	s_mov_b32 s5, 0x3f508ae3
	s_mov_b32 s8, 0xbca49b80
	;; [unrolled: 1-line block ×3, first 2 shown]
	v_fma_f64 v[82:83], v[14:15], v[82:83], s[4:5]
	s_mov_b32 s4, 0x5a23a237
	s_mov_b32 s5, 0x3f76b9f4
	s_mov_b32 s6, 0xcfc3e782
	v_fma_f64 v[70:71], v[14:15], v[70:71], s[4:5]
	v_fma_f64 v[68:69], v[14:15], v[68:69], s[8:9]
	s_mov_b32 s4, 0x4994337d
	s_mov_b32 s8, 0xee66af02
	s_mov_b32 s5, 0x3f42bfa9
	s_mov_b32 s9, 0x3f4fc5dd
	v_fma_f64 v[80:81], v[14:15], v[80:81], s[4:5]
	v_fma_f64 v[66:67], v[14:15], v[66:67], s[8:9]
	s_mov_b32 s4, 0x824a36a3
	;; [unrolled: 6-line block ×3, first 2 shown]
	s_mov_b32 s5, 0xbf9027d3
	s_mov_b32 s8, 0x79a30c43
	;; [unrolled: 1-line block ×3, first 2 shown]
	v_fma_f64 v[82:83], v[14:15], v[82:83], s[4:5]
	s_mov_b32 s4, 0x8827673f
	s_mov_b32 s5, 0xbfb45a32
	s_mov_b32 s7, 0x3f911020
	v_fma_f64 v[70:71], v[14:15], v[70:71], s[4:5]
	v_fma_f64 v[68:69], v[14:15], v[68:69], s[8:9]
	s_mov_b32 s4, 0xdd1119d7
	s_mov_b32 s8, 0xd8c9f622
	s_mov_b32 s5, 0xbf859f99
	s_mov_b32 s9, 0xbf80aed1
	v_fma_f64 v[80:81], v[14:15], v[80:81], s[4:5]
	v_fma_f64 v[86:87], v[14:15], v[66:67], s[8:9]
	s_mov_b32 s4, 0x3de6d508
	;; [unrolled: 6-line block ×3, first 2 shown]
	s_mov_b32 s5, 0x3fc6619c
	v_fma_f64 v[18:19], v[14:15], v[18:19], s[6:7]
	s_mov_b32 s6, 0xde362d25
	v_fma_f64 v[30:31], v[14:15], v[82:83], s[4:5]
	s_mov_b32 s4, 0xc0a93a7d
	s_mov_b32 s5, 0x3fe70bed
	;; [unrolled: 1-line block ×3, first 2 shown]
	v_fma_f64 v[34:35], v[14:15], v[70:71], s[4:5]
	v_fma_f64 v[66:67], v[14:15], v[68:69], s[6:7]
	s_mov_b32 s4, 0x6edd4e3b
	s_mov_b32 s6, 0xdabf427e
	;; [unrolled: 1-line block ×4, first 2 shown]
	v_fma_f64 v[84:85], v[14:15], v[80:81], s[4:5]
	v_fma_f64 v[80:81], v[14:15], v[86:87], s[6:7]
	s_mov_b32 s4, 0x948e74b0
	s_mov_b32 s6, 0x283b72df
	;; [unrolled: 1-line block ×4, first 2 shown]
	v_fma_f64 v[70:71], v[14:15], v[96:97], s[4:5]
	v_fma_f64 v[68:69], v[14:15], v[113:114], s[6:7]
                                        ; implicit-def: $vgpr14_vgpr15
.LBB0_54:
	s_andn2_saveexec_b32 s77, s12
	s_cbranch_execz .LBB0_76
; %bb.55:
                                        ; implicit-def: $vgpr68_vgpr69
                                        ; implicit-def: $vgpr70_vgpr71
                                        ; implicit-def: $vgpr80_vgpr81
                                        ; implicit-def: $vgpr84_vgpr85
                                        ; implicit-def: $vgpr66_vgpr67
                                        ; implicit-def: $vgpr34_vgpr35
                                        ; implicit-def: $vgpr30_vgpr31
                                        ; implicit-def: $vgpr18_vgpr19
	s_mov_b32 s4, exec_lo
	v_cmpx_ge_f64_e32 0x402e0000, v[14:15]
	s_xor_b32 s6, exec_lo, s4
	s_cbranch_execz .LBB0_57
; %bb.56:
	v_add_f64 v[80:81], 0xc0290000, v[14:15]
	s_mov_b32 s4, 0x328c27bd
	s_mov_b32 s8, 0x936c32ff
	s_mov_b32 s5, 0x3cccf39d
	s_mov_b32 s9, 0x3c8c86fc
	v_fma_f64 v[18:19], v[80:81], s[8:9], s[4:5]
	s_mov_b32 s4, 0x48e701c6
	s_mov_b32 s5, 0xbcf9375a
	s_mov_b32 s8, 0x2f2cdc3f
	s_mov_b32 s9, 0x3cc1a04c
	v_fma_f64 v[18:19], v[80:81], v[18:19], s[4:5]
	s_mov_b32 s4, 0xfbffcf3e
	s_mov_b32 s5, 0xbd43673c
	v_fma_f64 v[18:19], v[80:81], v[18:19], s[4:5]
	s_mov_b32 s4, 0x980128d2
	s_mov_b32 s5, 0x3d68a6e7
	v_fma_f64 v[18:19], v[80:81], v[18:19], s[4:5]
	s_mov_b32 s4, 0x36d5d067
	s_mov_b32 s5, 0x3dacac62
	v_fma_f64 v[18:19], v[80:81], v[18:19], s[4:5]
	s_mov_b32 s4, 0x1b0e80de
	s_mov_b32 s5, 0x3dd62eab
	v_fma_f64 v[18:19], v[80:81], v[18:19], s[4:5]
	s_mov_b32 s4, 0xc84ffb7c
	s_mov_b32 s5, 0xbe365c8a
	v_fma_f64 v[18:19], v[80:81], v[18:19], s[4:5]
	s_mov_b32 s4, 0xe999d843
	s_mov_b32 s5, 0x3e74be99
	v_fma_f64 v[18:19], v[80:81], v[18:19], s[4:5]
	s_mov_b32 s4, 0xf4998eed
	s_mov_b32 s5, 0xbebb18e9
	v_fma_f64 v[18:19], v[80:81], v[18:19], s[4:5]
	s_mov_b32 s4, 0x1d8533a2
	s_mov_b32 s5, 0x3f05c329
	v_fma_f64 v[18:19], v[80:81], v[18:19], s[4:5]
	s_mov_b32 s4, 0xd312143f
	s_mov_b32 s5, 0xbf49d103
	v_fma_f64 v[18:19], v[80:81], v[18:19], s[4:5]
	s_mov_b32 s4, 0x18b2a590
	s_mov_b32 s5, 0x3f8762cf
	v_fma_f64 v[18:19], v[80:81], v[18:19], s[4:5]
	s_mov_b32 s4, 0xf1625bc4
	s_mov_b32 s5, 0x3d07f4fa
	v_fma_f64 v[30:31], v[80:81], s[8:9], s[4:5]
	s_mov_b32 s4, 0x5ae5bc67
	s_mov_b32 s5, 0xbd2ea8e3
	s_mov_b32 s8, 0x6302ea23
	s_mov_b32 s9, 0x3d313cf2
	v_fma_f64 v[30:31], v[80:81], v[30:31], s[4:5]
	s_mov_b32 s4, 0xd99b7863
	s_mov_b32 s5, 0xbd7c6324
	v_fma_f64 v[30:31], v[80:81], v[30:31], s[4:5]
	s_mov_b32 s4, 0x65f523af
	s_mov_b32 s5, 0x3d913278
	v_fma_f64 v[30:31], v[80:81], v[30:31], s[4:5]
	s_mov_b32 s4, 0xe54e4884
	s_mov_b32 s5, 0x3dea3618
	v_fma_f64 v[30:31], v[80:81], v[30:31], s[4:5]
	s_mov_b32 s4, 0x7d8a763
	s_mov_b32 s5, 0x3e0e2f1b
	v_fma_f64 v[30:31], v[80:81], v[30:31], s[4:5]
	s_mov_b32 s4, 0x508feddf
	s_mov_b32 s5, 0xbe7008d7
	v_fma_f64 v[30:31], v[80:81], v[30:31], s[4:5]
	s_mov_b32 s4, 0x9b765962
	s_mov_b32 s5, 0x3eaf1023
	v_fma_f64 v[30:31], v[80:81], v[30:31], s[4:5]
	s_mov_b32 s4, 0x5908bf9d
	s_mov_b32 s5, 0xbef5381e
	v_fma_f64 v[30:31], v[80:81], v[30:31], s[4:5]
	s_mov_b32 s4, 0x5383a2e3
	s_mov_b32 s5, 0x3f402210
	v_fma_f64 v[30:31], v[80:81], v[30:31], s[4:5]
	s_mov_b32 s4, 0x57d3fda3
	s_mov_b32 s5, 0xbf81c91e
	v_fma_f64 v[30:31], v[80:81], v[30:31], s[4:5]
	s_mov_b32 s4, 0x3c40913b
	s_mov_b32 s5, 0x3fbda6c5
	v_fma_f64 v[30:31], v[80:81], v[30:31], s[4:5]
	s_mov_b32 s4, 0xc229b703
	s_mov_b32 s5, 0x3d3f9e25
	;; [unrolled: 38-line block ×3, first 2 shown]
	s_mov_b32 s8, 0xe39e4c1
	s_mov_b32 s9, 0x3c4ac8eb
	v_fma_f64 v[66:67], v[80:81], v[66:67], s[4:5]
	s_mov_b32 s4, 0xf864f1fa
	s_mov_b32 s5, 0x3dd0b245
	v_fma_f64 v[66:67], v[80:81], v[66:67], s[4:5]
	;; [unrolled: 3-line block ×12, first 2 shown]
	s_mov_b32 s4, 0xa9a26937
	s_mov_b32 s5, 0x3cc69ac2
	s_mov_b32 s8, 0x6a729bc1
	s_mov_b32 s9, 0xbc882fbf
	v_fma_f64 v[68:69], v[80:81], v[68:69], s[4:5]
	s_mov_b32 s4, 0x29cb45e0
	s_mov_b32 s5, 0xbd041f41
	v_fma_f64 v[68:69], v[80:81], v[68:69], s[4:5]
	s_mov_b32 s4, 0xd9cbb0dd
	s_mov_b32 s5, 0x3d40d06d
	v_fma_f64 v[68:69], v[80:81], v[68:69], s[4:5]
	s_mov_b32 s4, 0x5b4a1d3
	s_mov_b32 s5, 0xbd7998cc
	v_fma_f64 v[68:69], v[80:81], v[68:69], s[4:5]
	s_mov_b32 s4, 0xaeb4e9b
	s_mov_b32 s5, 0x3db20abf
	v_fma_f64 v[68:69], v[80:81], v[68:69], s[4:5]
	s_mov_b32 s4, 0xe431a3d5
	s_mov_b32 s5, 0xbde7a347
	v_fma_f64 v[68:69], v[80:81], v[68:69], s[4:5]
	s_mov_b32 s4, 0x87b95ba7
	s_mov_b32 s5, 0x3e1c214a
	v_fma_f64 v[68:69], v[80:81], v[68:69], s[4:5]
	s_mov_b32 s4, 0xac1f01c4
	s_mov_b32 s5, 0xbe4de6a9
	v_fma_f64 v[68:69], v[80:81], v[68:69], s[4:5]
	s_mov_b32 s4, 0x664a2e56
	s_mov_b32 s5, 0x3e7c9880
	v_fma_f64 v[68:69], v[80:81], v[68:69], s[4:5]
	s_mov_b32 s4, 0x3147d825
	s_mov_b32 s5, 0xbea86a56
	v_fma_f64 v[68:69], v[80:81], v[68:69], s[4:5]
	s_mov_b32 s4, 0x14a375ba
	s_mov_b32 s5, 0x3ed14987
	v_fma_f64 v[68:69], v[80:81], v[68:69], s[4:5]
	s_mov_b32 s4, 0x1566d217
	s_mov_b32 s5, 0xbef2502d
	v_fma_f64 v[68:69], v[80:81], v[68:69], s[4:5]
	s_mov_b32 s4, 0x51ff4182
	s_mov_b32 s5, 0x3f164a33
	v_fma_f64 v[68:69], v[80:81], v[68:69], s[4:5]
	s_mov_b32 s4, 0x84a0c460
	s_mov_b32 s5, 0x3cc569db
	v_fma_f64 v[70:71], v[80:81], s[8:9], s[4:5]
	s_mov_b32 s4, 0xf9e12faa
	s_mov_b32 s5, 0xbd09de5d
	s_mov_b32 s8, 0xcf06091d
	s_mov_b32 s9, 0xbcfc0650
	v_fma_f64 v[70:71], v[80:81], v[70:71], s[4:5]
	s_mov_b32 s4, 0xa2d91270
	s_mov_b32 s5, 0x3d4a7a1c
	v_fma_f64 v[70:71], v[80:81], v[70:71], s[4:5]
	;; [unrolled: 3-line block ×13, first 2 shown]
	s_mov_b32 s4, 0x39716841
	s_mov_b32 s5, 0xbd68131a
	s_mov_b32 s8, 0x6a5dcb37
	s_mov_b32 s9, 0x3e5ade15
	v_fma_f64 v[82:83], v[80:81], v[82:83], s[4:5]
	s_mov_b32 s4, 0x36bc0b49
	s_mov_b32 s5, 0x3db1566a
	v_fma_f64 v[82:83], v[80:81], v[82:83], s[4:5]
	s_mov_b32 s4, 0x3d84cb1b
	s_mov_b32 s5, 0xbdfce3aa
	;; [unrolled: 3-line block ×10, first 2 shown]
	v_div_scale_f64 v[82:83], null, v[14:15], v[14:15], s[4:5]
	v_rcp_f64_e32 v[84:85], v[82:83]
	v_fma_f64 v[86:87], -v[82:83], v[84:85], 1.0
	v_fma_f64 v[84:85], v[84:85], v[86:87], v[84:85]
	v_fma_f64 v[86:87], -v[82:83], v[84:85], 1.0
	v_fma_f64 v[84:85], v[84:85], v[86:87], v[84:85]
	v_div_scale_f64 v[86:87], vcc_lo, s[4:5], v[14:15], s[4:5]
	v_mul_f64 v[96:97], v[86:87], v[84:85]
	v_fma_f64 v[82:83], -v[82:83], v[96:97], v[86:87]
	v_div_fmas_f64 v[82:83], v[82:83], v[84:85], v[96:97]
	v_div_fixup_f64 v[82:83], v[82:83], v[14:15], s[4:5]
	s_mov_b32 s4, 0x1930dd58
	s_mov_b32 s5, 0x3fcd6df8
	v_add_f64 v[82:83], v[82:83], s[4:5]
	s_mov_b32 s4, 0xa84e6e89
	s_mov_b32 s5, 0xbfdfee97
	v_div_scale_f64 v[84:85], null, v[14:15], v[14:15], v[82:83]
	v_rcp_f64_e32 v[86:87], v[84:85]
	v_fma_f64 v[96:97], -v[84:85], v[86:87], 1.0
	v_fma_f64 v[86:87], v[86:87], v[96:97], v[86:87]
	v_fma_f64 v[96:97], -v[84:85], v[86:87], 1.0
	v_fma_f64 v[86:87], v[86:87], v[96:97], v[86:87]
	v_div_scale_f64 v[96:97], vcc_lo, v[82:83], v[14:15], v[82:83]
	v_mul_f64 v[113:114], v[96:97], v[86:87]
	v_fma_f64 v[84:85], -v[84:85], v[113:114], v[96:97]
	v_div_fmas_f64 v[84:85], v[84:85], v[86:87], v[113:114]
	v_div_fixup_f64 v[82:83], v[84:85], v[14:15], v[82:83]
	v_add_f64 v[82:83], v[82:83], s[4:5]
	s_mov_b32 s4, 0x3edd2a8f
	s_mov_b32 s5, 0xbef6fb2b
	v_div_scale_f64 v[84:85], null, v[14:15], v[14:15], v[82:83]
	v_rcp_f64_e32 v[86:87], v[84:85]
	v_fma_f64 v[96:97], -v[84:85], v[86:87], 1.0
	v_fma_f64 v[86:87], v[86:87], v[96:97], v[86:87]
	v_fma_f64 v[96:97], -v[84:85], v[86:87], 1.0
	v_fma_f64 v[86:87], v[86:87], v[96:97], v[86:87]
	v_div_scale_f64 v[96:97], vcc_lo, v[82:83], v[14:15], v[82:83]
	v_mul_f64 v[113:114], v[96:97], v[86:87]
	v_fma_f64 v[84:85], -v[84:85], v[113:114], v[96:97]
	v_div_fmas_f64 v[84:85], v[84:85], v[86:87], v[113:114]
	v_div_fixup_f64 v[82:83], v[84:85], v[14:15], v[82:83]
	v_add_f64 v[82:83], v[82:83], s[4:5]
	s_mov_b32 s4, 0x652b82fe
	s_mov_b32 s5, 0xbff71547
	v_mul_f64 v[84:85], v[14:15], s[4:5]
	s_mov_b32 s4, 0xfefa39ef
	s_mov_b32 s5, 0xbfe62e42
	v_rndne_f64_e32 v[84:85], v[84:85]
	v_fma_f64 v[86:87], v[84:85], s[4:5], -v[14:15]
	s_mov_b32 s4, 0x3b39803f
	s_mov_b32 s5, 0xbc7abc9e
	v_fma_f64 v[86:87], v[84:85], s[4:5], v[86:87]
	s_mov_b32 s4, 0xfca7ab0c
	s_mov_b32 s5, 0x3e928af3
	v_cvt_i32_f64_e32 v84, v[84:85]
	v_fma_f64 v[96:97], v[86:87], s[8:9], s[4:5]
	s_mov_b32 s4, 0x623fde64
	s_mov_b32 s5, 0x3ec71dee
	v_fma_f64 v[96:97], v[86:87], v[96:97], s[4:5]
	s_mov_b32 s4, 0x7c89e6b0
	s_mov_b32 s5, 0x3efa0199
	;; [unrolled: 3-line block ×9, first 2 shown]
	v_fma_f64 v[96:97], v[86:87], v[96:97], 1.0
	v_fma_f64 v[86:87], v[86:87], v[96:97], 1.0
	v_ldexp_f64 v[84:85], v[86:87], v84
	v_div_scale_f64 v[86:87], null, v[14:15], v[14:15], s[4:5]
	v_rcp_f64_e32 v[96:97], v[86:87]
	v_fma_f64 v[113:114], -v[86:87], v[96:97], 1.0
	v_fma_f64 v[96:97], v[96:97], v[113:114], v[96:97]
	v_fma_f64 v[113:114], -v[86:87], v[96:97], 1.0
	v_fma_f64 v[96:97], v[96:97], v[113:114], v[96:97]
	v_div_scale_f64 v[113:114], vcc_lo, s[4:5], v[14:15], s[4:5]
	v_mul_f64 v[115:116], v[113:114], v[96:97]
	v_fma_f64 v[86:87], -v[86:87], v[115:116], v[113:114]
	v_div_fmas_f64 v[86:87], v[86:87], v[96:97], v[115:116]
	v_div_fixup_f64 v[14:15], v[86:87], v[14:15], s[4:5]
	v_cmp_gt_f64_e32 vcc_lo, 0x10000000, v[14:15]
	v_cndmask_b32_e64 v86, 0, 0x100, vcc_lo
	v_ldexp_f64 v[14:15], v[14:15], v86
	v_rsq_f64_e32 v[86:87], v[14:15]
	v_mul_f64 v[96:97], v[14:15], v[86:87]
	v_mul_f64 v[86:87], v[86:87], 0.5
	v_fma_f64 v[113:114], -v[86:87], v[96:97], 0.5
	v_fma_f64 v[96:97], v[96:97], v[113:114], v[96:97]
	v_fma_f64 v[86:87], v[86:87], v[113:114], v[86:87]
	v_fma_f64 v[115:116], -v[96:97], v[96:97], v[14:15]
	v_fma_f64 v[96:97], v[115:116], v[86:87], v[96:97]
	v_fma_f64 v[113:114], -v[96:97], v[96:97], v[14:15]
	v_fma_f64 v[86:87], v[113:114], v[86:87], v[96:97]
	v_cndmask_b32_e64 v96, 0, 0xffffff80, vcc_lo
	v_cmp_class_f64_e64 vcc_lo, v[14:15], 0x260
	v_ldexp_f64 v[86:87], v[86:87], v96
	v_cndmask_b32_e32 v15, v87, v15, vcc_lo
	v_cndmask_b32_e32 v14, v86, v14, vcc_lo
	v_fma_f64 v[14:15], v[82:83], v[84:85], v[14:15]
	v_add_f64 v[14:15], v[14:15], -v[68:69]
	v_add_f64 v[14:15], v[14:15], -v[70:71]
	;; [unrolled: 1-line block ×3, first 2 shown]
                                        ; implicit-def: $vgpr14_vgpr15
.LBB0_57:
	s_andn2_saveexec_b32 s78, s6
	s_cbranch_execz .LBB0_75
; %bb.58:
                                        ; implicit-def: $vgpr68_vgpr69
                                        ; implicit-def: $vgpr70_vgpr71
                                        ; implicit-def: $vgpr80_vgpr81
                                        ; implicit-def: $vgpr84_vgpr85
                                        ; implicit-def: $vgpr66_vgpr67
                                        ; implicit-def: $vgpr34_vgpr35
                                        ; implicit-def: $vgpr30_vgpr31
                                        ; implicit-def: $vgpr18_vgpr19
	s_mov_b32 s4, exec_lo
	v_cmpx_ge_f64_e32 0x40340000, v[14:15]
	s_xor_b32 s6, exec_lo, s4
	s_cbranch_execz .LBB0_60
; %bb.59:
	s_mov_b32 s4, 0x54442d15
	s_mov_b32 s5, 0x3fe921fb
	v_add_f64 v[80:81], 0xc0318000, v[14:15]
	v_div_scale_f64 v[18:19], null, v[14:15], v[14:15], s[4:5]
	s_mov_b32 s8, 0x9a0e0f07
	s_mov_b32 s9, 0x3c892c94
	v_rcp_f64_e32 v[30:31], v[18:19]
	v_fma_f64 v[34:35], -v[18:19], v[30:31], 1.0
	v_fma_f64 v[30:31], v[30:31], v[34:35], v[30:31]
	v_fma_f64 v[34:35], -v[18:19], v[30:31], 1.0
	v_fma_f64 v[30:31], v[30:31], v[34:35], v[30:31]
	v_div_scale_f64 v[34:35], vcc_lo, s[4:5], v[14:15], s[4:5]
	v_mul_f64 v[66:67], v[34:35], v[30:31]
	v_fma_f64 v[18:19], -v[18:19], v[66:67], v[34:35]
	v_div_fmas_f64 v[18:19], v[18:19], v[30:31], v[66:67]
	v_div_fixup_f64 v[18:19], v[18:19], v[14:15], s[4:5]
	s_mov_b32 s4, 0x3b3efd91
	s_mov_b32 s5, 0xbca043d2
	v_cmp_gt_f64_e32 vcc_lo, 0x10000000, v[18:19]
	v_cndmask_b32_e64 v30, 0, 0x100, vcc_lo
	v_ldexp_f64 v[18:19], v[18:19], v30
	v_rsq_f64_e32 v[30:31], v[18:19]
	v_mul_f64 v[34:35], v[18:19], v[30:31]
	v_mul_f64 v[30:31], v[30:31], 0.5
	v_fma_f64 v[66:67], -v[30:31], v[34:35], 0.5
	v_fma_f64 v[34:35], v[34:35], v[66:67], v[34:35]
	v_fma_f64 v[30:31], v[30:31], v[66:67], v[30:31]
	v_fma_f64 v[68:69], -v[34:35], v[34:35], v[18:19]
	v_fma_f64 v[34:35], v[68:69], v[30:31], v[34:35]
	v_fma_f64 v[66:67], -v[34:35], v[34:35], v[18:19]
	v_fma_f64 v[30:31], v[66:67], v[30:31], v[34:35]
	v_cndmask_b32_e64 v34, 0, 0xffffff80, vcc_lo
	v_cmp_class_f64_e64 vcc_lo, v[18:19], 0x260
	v_ldexp_f64 v[30:31], v[30:31], v34
	v_cndmask_b32_e32 v83, v31, v19, vcc_lo
	v_cndmask_b32_e32 v82, v30, v18, vcc_lo
	v_fma_f64 v[18:19], v[80:81], s[8:9], s[4:5]
	s_mov_b32 s4, 0x1914b161
	s_mov_b32 s5, 0xbcfbb24b
	s_mov_b32 s8, 0x59ba863c
	s_mov_b32 s9, 0x3cc1f9a9
	v_fma_f64 v[18:19], v[80:81], v[18:19], s[4:5]
	s_mov_b32 s4, 0x39566f7e
	s_mov_b32 s5, 0x3d3061eb
	v_fma_f64 v[18:19], v[80:81], v[18:19], s[4:5]
	s_mov_b32 s4, 0x330c2342
	s_mov_b32 s5, 0x3d5ef037
	v_fma_f64 v[18:19], v[80:81], v[18:19], s[4:5]
	s_mov_b32 s4, 0x65ee2f0a
	s_mov_b32 s5, 0xbdab572d
	v_fma_f64 v[18:19], v[80:81], v[18:19], s[4:5]
	s_mov_b32 s4, 0x8371e47a
	s_mov_b32 s5, 0x3dd27254
	v_fma_f64 v[18:19], v[80:81], v[18:19], s[4:5]
	s_mov_b32 s4, 0x3f80e0fb
	s_mov_b32 s5, 0x3df0c21f
	v_fma_f64 v[18:19], v[80:81], v[18:19], s[4:5]
	s_mov_b32 s4, 0xc59c3d44
	s_mov_b32 s5, 0x3e51fdd7
	v_fma_f64 v[18:19], v[80:81], v[18:19], s[4:5]
	s_mov_b32 s4, 0xf1a3d3fd
	s_mov_b32 s5, 0xbeaf4c29
	v_fma_f64 v[18:19], v[80:81], v[18:19], s[4:5]
	s_mov_b32 s4, 0xffc4948c
	s_mov_b32 s5, 0x3ef9106c
	v_fma_f64 v[18:19], v[80:81], v[18:19], s[4:5]
	s_mov_b32 s4, 0xb87bd65f
	s_mov_b32 s5, 0xbf3eb69c
	v_fma_f64 v[18:19], v[80:81], v[18:19], s[4:5]
	s_mov_b32 s4, 0x337716bf
	s_mov_b32 s5, 0x3f8119b0
	v_fma_f64 v[18:19], v[80:81], v[18:19], s[4:5]
	s_mov_b32 s4, 0x981b2925
	s_mov_b32 s5, 0xbcb2c9aa
	v_fma_f64 v[30:31], v[80:81], s[8:9], s[4:5]
	s_mov_b32 s4, 0x35f4923d
	s_mov_b32 s5, 0xbd35e297
	s_mov_b32 s8, 0x74e4f6e6
	s_mov_b32 s9, 0x3ce13fa6
	v_fma_f64 v[30:31], v[80:81], v[30:31], s[4:5]
	s_mov_b32 s4, 0x5759b54f
	s_mov_b32 s5, 0x3d6449a5
	v_fma_f64 v[30:31], v[80:81], v[30:31], s[4:5]
	s_mov_b32 s4, 0x99195019
	s_mov_b32 s5, 0x3d9c4a92
	v_fma_f64 v[30:31], v[80:81], v[30:31], s[4:5]
	s_mov_b32 s4, 0xf7340b9d
	s_mov_b32 s5, 0xbde32ebd
	v_fma_f64 v[30:31], v[80:81], v[30:31], s[4:5]
	s_mov_b32 s4, 0x87d875e3
	s_mov_b32 s5, 0x3e0475a5
	v_fma_f64 v[30:31], v[80:81], v[30:31], s[4:5]
	s_mov_b32 s4, 0xdfdfa6c1
	s_mov_b32 s5, 0x3e24d400
	v_fma_f64 v[30:31], v[80:81], v[30:31], s[4:5]
	s_mov_b32 s4, 0xa9feb998
	s_mov_b32 s5, 0x3e909bc5
	v_fma_f64 v[30:31], v[80:81], v[30:31], s[4:5]
	s_mov_b32 s4, 0xb6dd03ff
	s_mov_b32 s5, 0xbee80e77
	v_fma_f64 v[30:31], v[80:81], v[30:31], s[4:5]
	s_mov_b32 s4, 0x6af742f4
	s_mov_b32 s5, 0x3f31c6dc
	v_fma_f64 v[30:31], v[80:81], v[30:31], s[4:5]
	s_mov_b32 s4, 0x8f4e8d24
	s_mov_b32 s5, 0xbf745975
	v_fma_f64 v[30:31], v[80:81], v[30:31], s[4:5]
	s_mov_b32 s4, 0x9b2718ff
	s_mov_b32 s5, 0x3fb52568
	v_fma_f64 v[30:31], v[80:81], v[30:31], s[4:5]
	s_mov_b32 s4, 0x43c1bb52
	s_mov_b32 s5, 0x3d10c208
	;; [unrolled: 38-line block ×5, first 2 shown]
	v_fma_f64 v[68:69], v[80:81], v[68:69], s[4:5]
	s_mov_b32 s4, 0x48262558
	s_mov_b32 s5, 0x3cb35d88
	v_fma_f64 v[70:71], v[80:81], s[8:9], s[4:5]
	s_mov_b32 s4, 0x3cc7f543
	s_mov_b32 s5, 0x3d0e6092
	;; [unrolled: 1-line block ×4, first 2 shown]
	v_fma_f64 v[70:71], v[80:81], v[70:71], s[4:5]
	s_mov_b32 s4, 0x7fa9cc7e
	s_mov_b32 s5, 0xbd51a506
	v_fma_f64 v[70:71], v[80:81], v[70:71], s[4:5]
	s_mov_b32 s4, 0x8d2c23ca
	s_mov_b32 s5, 0x3d811a43
	;; [unrolled: 3-line block ×12, first 2 shown]
	s_mov_b32 s8, 0x6a5dcb37
	s_mov_b32 s9, 0x3e5ade15
	v_fma_f64 v[84:85], v[80:81], v[84:85], s[4:5]
	s_mov_b32 s4, 0x3bf33b8f
	s_mov_b32 s5, 0xbd5fa782
	v_fma_f64 v[84:85], v[80:81], v[84:85], s[4:5]
	;; [unrolled: 3-line block ×11, first 2 shown]
	s_mov_b32 s4, 0xb4d0174d
	s_mov_b32 s5, 0x3fc91e26
	v_div_scale_f64 v[84:85], null, v[14:15], v[14:15], s[4:5]
	v_rcp_f64_e32 v[86:87], v[84:85]
	v_fma_f64 v[96:97], -v[84:85], v[86:87], 1.0
	v_fma_f64 v[86:87], v[86:87], v[96:97], v[86:87]
	v_fma_f64 v[96:97], -v[84:85], v[86:87], 1.0
	v_fma_f64 v[86:87], v[86:87], v[96:97], v[86:87]
	v_div_scale_f64 v[96:97], vcc_lo, s[4:5], v[14:15], s[4:5]
	v_mul_f64 v[113:114], v[96:97], v[86:87]
	v_fma_f64 v[84:85], -v[84:85], v[113:114], v[96:97]
	v_div_fmas_f64 v[84:85], v[84:85], v[86:87], v[113:114]
	v_div_fixup_f64 v[84:85], v[84:85], v[14:15], s[4:5]
	s_mov_b32 s4, 0x80245b5f
	s_mov_b32 s5, 0xbfdfce11
	v_add_f64 v[84:85], v[84:85], s[4:5]
	s_mov_b32 s4, 0x6403a8cf
	s_mov_b32 s5, 0xbf0f8a14
	v_div_scale_f64 v[86:87], null, v[14:15], v[14:15], v[84:85]
	v_rcp_f64_e32 v[96:97], v[86:87]
	v_fma_f64 v[113:114], -v[86:87], v[96:97], 1.0
	v_fma_f64 v[96:97], v[96:97], v[113:114], v[96:97]
	v_fma_f64 v[113:114], -v[86:87], v[96:97], 1.0
	v_fma_f64 v[96:97], v[96:97], v[113:114], v[96:97]
	v_div_scale_f64 v[113:114], vcc_lo, v[84:85], v[14:15], v[84:85]
	v_mul_f64 v[115:116], v[113:114], v[96:97]
	v_fma_f64 v[86:87], -v[86:87], v[115:116], v[113:114]
	v_div_fmas_f64 v[86:87], v[86:87], v[96:97], v[115:116]
	v_div_fixup_f64 v[84:85], v[86:87], v[14:15], v[84:85]
	v_add_f64 v[84:85], v[84:85], s[4:5]
	s_mov_b32 s4, 0x652b82fe
	s_mov_b32 s5, 0xbff71547
	v_mul_f64 v[86:87], v[14:15], s[4:5]
	s_mov_b32 s4, 0xfefa39ef
	s_mov_b32 s5, 0xbfe62e42
	v_rndne_f64_e32 v[86:87], v[86:87]
	v_fma_f64 v[14:15], v[86:87], s[4:5], -v[14:15]
	s_mov_b32 s4, 0x3b39803f
	s_mov_b32 s5, 0xbc7abc9e
	v_fma_f64 v[14:15], v[86:87], s[4:5], v[14:15]
	s_mov_b32 s4, 0xfca7ab0c
	s_mov_b32 s5, 0x3e928af3
	v_cvt_i32_f64_e32 v86, v[86:87]
	v_fma_f64 v[96:97], v[14:15], s[8:9], s[4:5]
	s_mov_b32 s4, 0x623fde64
	s_mov_b32 s5, 0x3ec71dee
	v_fma_f64 v[96:97], v[14:15], v[96:97], s[4:5]
	s_mov_b32 s4, 0x7c89e6b0
	s_mov_b32 s5, 0x3efa0199
	;; [unrolled: 3-line block ×8, first 2 shown]
	v_fma_f64 v[96:97], v[14:15], v[96:97], s[4:5]
	v_fma_f64 v[96:97], v[14:15], v[96:97], 1.0
	v_fma_f64 v[14:15], v[14:15], v[96:97], 1.0
	v_ldexp_f64 v[14:15], v[14:15], v86
	v_fma_f64 v[14:15], v[84:85], v[14:15], v[82:83]
	v_add_f64 v[14:15], v[14:15], -v[80:81]
	v_add_f64 v[14:15], v[14:15], -v[70:71]
	;; [unrolled: 1-line block ×3, first 2 shown]
                                        ; implicit-def: $vgpr14_vgpr15
.LBB0_60:
	s_andn2_saveexec_b32 s79, s6
	s_cbranch_execz .LBB0_74
; %bb.61:
                                        ; implicit-def: $vgpr68_vgpr69
                                        ; implicit-def: $vgpr70_vgpr71
                                        ; implicit-def: $vgpr80_vgpr81
                                        ; implicit-def: $vgpr84_vgpr85
                                        ; implicit-def: $vgpr66_vgpr67
                                        ; implicit-def: $vgpr34_vgpr35
                                        ; implicit-def: $vgpr30_vgpr31
                                        ; implicit-def: $vgpr18_vgpr19
	s_mov_b32 s4, exec_lo
	v_cmpx_ge_f64_e32 0x40418000, v[14:15]
	s_xor_b32 s6, exec_lo, s4
	s_cbranch_execz .LBB0_67
; %bb.62:
	s_mov_b32 s4, exec_lo
                                        ; implicit-def: $vgpr68_vgpr69
	v_cmpx_ge_f64_e32 0x40390000, v[14:15]
	s_xor_b32 s4, exec_lo, s4
	s_cbranch_execz .LBB0_64
; %bb.63:
	s_mov_b32 s8, 0xc7b11de
	s_mov_b32 s9, 0x40d03606
	;; [unrolled: 1-line block ×3, first 2 shown]
	v_div_scale_f64 v[18:19], null, v[14:15], v[14:15], s[8:9]
	s_mov_b32 s12, 0x4cdb917b
	s_mov_b32 s11, 0xbf0400fb
	s_mov_b32 s13, 0x3e8f6025
	v_rcp_f64_e32 v[30:31], v[18:19]
	v_fma_f64 v[34:35], -v[18:19], v[30:31], 1.0
	v_fma_f64 v[30:31], v[30:31], v[34:35], v[30:31]
	v_fma_f64 v[34:35], v[14:15], s[12:13], s[10:11]
	s_mov_b32 s10, 0x831bb559
	s_mov_b32 s11, 0x3f6cc9bd
	v_fma_f64 v[66:67], -v[18:19], v[30:31], 1.0
	v_fma_f64 v[34:35], v[14:15], v[34:35], s[10:11]
	s_mov_b32 s10, 0xcbd73d1d
	s_mov_b32 s11, 0xbfc55122
	v_fma_f64 v[30:31], v[30:31], v[66:67], v[30:31]
	v_div_scale_f64 v[66:67], vcc_lo, s[8:9], v[14:15], s[8:9]
	v_fma_f64 v[34:35], v[14:15], v[34:35], s[10:11]
	s_mov_b32 s10, 0x498ee224
	s_mov_b32 s11, 0x40133343
	v_mul_f64 v[68:69], v[66:67], v[30:31]
	v_fma_f64 v[34:35], v[14:15], v[34:35], s[10:11]
	s_mov_b32 s10, 0x110ecaa3
	s_mov_b32 s11, 0xc055d443
	v_fma_f64 v[18:19], -v[18:19], v[68:69], v[66:67]
	v_fma_f64 v[34:35], v[14:15], v[34:35], s[10:11]
	s_mov_b32 s10, 0x11ae71bd
	s_mov_b32 s11, 0x408e8d78
	v_div_fmas_f64 v[18:19], v[18:19], v[30:31], v[68:69]
	v_fma_f64 v[30:31], v[14:15], v[34:35], s[10:11]
	v_div_fixup_f64 v[18:19], v[18:19], v[14:15], s[8:9]
	s_mov_b32 s8, 0x6c1bb060
	s_mov_b32 s9, 0xc0b800ca
	v_fma_f64 v[18:19], v[14:15], v[30:31], v[18:19]
	v_add_f64 v[68:69], v[18:19], s[8:9]
.LBB0_64:
	s_andn2_saveexec_b32 s4, s4
	s_cbranch_execz .LBB0_66
; %bb.65:
	s_mov_b32 s8, 0x6624dbe0
	s_mov_b32 s10, 0x3c3a8062
	;; [unrolled: 1-line block ×4, first 2 shown]
	v_fma_f64 v[18:19], v[14:15], s[10:11], s[8:9]
	s_mov_b32 s8, 0x79524e87
	s_mov_b32 s9, 0x3f2ecfbc
	v_fma_f64 v[18:19], v[14:15], v[18:19], s[8:9]
	s_mov_b32 s8, 0x289cd2a5
	s_mov_b32 s9, 0xbf6f0844
	;; [unrolled: 3-line block ×5, first 2 shown]
	v_fma_f64 v[68:69], v[14:15], v[18:19], s[8:9]
.LBB0_66:
	s_or_b32 exec_lo, exec_lo, s4
	s_mov_b32 s4, 0x54442d15
	s_mov_b32 s5, 0x3fe921fb
	;; [unrolled: 1-line block ×3, first 2 shown]
	v_div_scale_f64 v[18:19], null, v[14:15], v[14:15], s[4:5]
	s_mov_b32 s9, 0x3e5ade15
	v_rcp_f64_e32 v[30:31], v[18:19]
	v_fma_f64 v[34:35], -v[18:19], v[30:31], 1.0
	v_fma_f64 v[30:31], v[30:31], v[34:35], v[30:31]
	v_fma_f64 v[34:35], -v[18:19], v[30:31], 1.0
	v_fma_f64 v[30:31], v[30:31], v[34:35], v[30:31]
	v_div_scale_f64 v[34:35], vcc_lo, s[4:5], v[14:15], s[4:5]
	v_mul_f64 v[66:67], v[34:35], v[30:31]
	v_fma_f64 v[18:19], -v[18:19], v[66:67], v[34:35]
	v_div_fmas_f64 v[18:19], v[18:19], v[30:31], v[66:67]
	v_div_fixup_f64 v[18:19], v[18:19], v[14:15], s[4:5]
	s_mov_b32 s4, 0x652b82fe
	s_mov_b32 s5, 0xbff71547
	v_cmp_gt_f64_e32 vcc_lo, 0x10000000, v[18:19]
	v_cndmask_b32_e64 v30, 0, 0x100, vcc_lo
	v_ldexp_f64 v[18:19], v[18:19], v30
	v_rsq_f64_e32 v[30:31], v[18:19]
	v_mul_f64 v[34:35], v[18:19], v[30:31]
	v_mul_f64 v[30:31], v[30:31], 0.5
	v_fma_f64 v[66:67], -v[30:31], v[34:35], 0.5
	v_fma_f64 v[34:35], v[34:35], v[66:67], v[34:35]
	v_fma_f64 v[30:31], v[30:31], v[66:67], v[30:31]
	v_fma_f64 v[70:71], -v[34:35], v[34:35], v[18:19]
	v_fma_f64 v[34:35], v[70:71], v[30:31], v[34:35]
	v_fma_f64 v[66:67], -v[34:35], v[34:35], v[18:19]
	v_fma_f64 v[30:31], v[66:67], v[30:31], v[34:35]
	v_cndmask_b32_e64 v34, 0, 0xffffff80, vcc_lo
	v_cmp_class_f64_e64 vcc_lo, v[18:19], 0x260
	v_ldexp_f64 v[30:31], v[30:31], v34
	v_cndmask_b32_e32 v83, v31, v19, vcc_lo
	v_cndmask_b32_e32 v82, v30, v18, vcc_lo
	v_mul_f64 v[18:19], v[14:15], s[4:5]
	s_mov_b32 s4, 0xfefa39ef
	s_mov_b32 s5, 0xbfe62e42
	v_rndne_f64_e32 v[18:19], v[18:19]
	v_fma_f64 v[30:31], v[18:19], s[4:5], -v[14:15]
	s_mov_b32 s4, 0x3b39803f
	s_mov_b32 s5, 0xbc7abc9e
	v_fma_f64 v[30:31], v[18:19], s[4:5], v[30:31]
	s_mov_b32 s4, 0xfca7ab0c
	s_mov_b32 s5, 0x3e928af3
	v_cvt_i32_f64_e32 v18, v[18:19]
	v_fma_f64 v[34:35], v[30:31], s[8:9], s[4:5]
	s_mov_b32 s4, 0x623fde64
	s_mov_b32 s5, 0x3ec71dee
	;; [unrolled: 1-line block ×4, first 2 shown]
	v_fma_f64 v[34:35], v[30:31], v[34:35], s[4:5]
	s_mov_b32 s4, 0x7c89e6b0
	s_mov_b32 s5, 0x3efa0199
	v_fma_f64 v[34:35], v[30:31], v[34:35], s[4:5]
	s_mov_b32 s4, 0x14761f6e
	s_mov_b32 s5, 0x3f2a01a0
	v_fma_f64 v[34:35], v[30:31], v[34:35], s[4:5]
	s_mov_b32 s4, 0x1852b7b0
	s_mov_b32 s5, 0x3f56c16c
	v_fma_f64 v[34:35], v[30:31], v[34:35], s[4:5]
	s_mov_b32 s4, 0x11122322
	s_mov_b32 s5, 0x3f811111
	v_fma_f64 v[34:35], v[30:31], v[34:35], s[4:5]
	s_mov_b32 s4, 0x555502a1
	s_mov_b32 s5, 0x3fa55555
	v_fma_f64 v[34:35], v[30:31], v[34:35], s[4:5]
	s_mov_b32 s4, 0x55555511
	s_mov_b32 s5, 0x3fc55555
	v_fma_f64 v[34:35], v[30:31], v[34:35], s[4:5]
	s_mov_b32 s4, 11
	s_mov_b32 s5, 0x3fe00000
	v_fma_f64 v[34:35], v[30:31], v[34:35], s[4:5]
	s_mov_b32 s4, 0x470dc5ef
	s_mov_b32 s5, 0x3f54d9ff
	v_fma_f64 v[34:35], v[30:31], v[34:35], 1.0
	v_fma_f64 v[30:31], v[30:31], v[34:35], 1.0
	v_ldexp_f64 v[84:85], v[30:31], v18
	v_fma_f64 v[18:19], v[14:15], s[8:9], s[4:5]
	s_mov_b32 s4, 0x48e0f48f
	s_mov_b32 s5, 0xbfce548a
	;; [unrolled: 1-line block ×4, first 2 shown]
	v_mul_f64 v[68:69], v[84:85], v[68:69]
	v_fma_f64 v[18:19], v[14:15], v[18:19], s[4:5]
	s_mov_b32 s4, 0xcc9d5bf4
	s_mov_b32 s5, 0x402eddba
	v_fma_f64 v[18:19], v[14:15], v[18:19], s[4:5]
	s_mov_b32 s4, 0xad9d3c3f
	s_mov_b32 s5, 0xc0805664
	;; [unrolled: 3-line block ×4, first 2 shown]
	v_div_scale_f64 v[30:31], null, v[14:15], v[14:15], s[4:5]
	v_rcp_f64_e32 v[34:35], v[30:31]
	v_fma_f64 v[66:67], -v[30:31], v[34:35], 1.0
	v_fma_f64 v[34:35], v[34:35], v[66:67], v[34:35]
	v_fma_f64 v[66:67], -v[30:31], v[34:35], 1.0
	v_fma_f64 v[34:35], v[34:35], v[66:67], v[34:35]
	v_div_scale_f64 v[66:67], vcc_lo, s[4:5], v[14:15], s[4:5]
	v_mul_f64 v[70:71], v[66:67], v[34:35]
	v_fma_f64 v[30:31], -v[30:31], v[70:71], v[66:67]
	v_div_fmas_f64 v[30:31], v[30:31], v[34:35], v[70:71]
	v_div_fixup_f64 v[30:31], v[30:31], v[14:15], s[4:5]
	s_mov_b32 s4, 0xbf42f4bf
	s_mov_b32 s5, 0x412aa41e
	v_add_f64 v[30:31], v[30:31], s[4:5]
	s_mov_b32 s4, 0x1e414e3a
	s_mov_b32 s5, 0xc0ff8aa6
	v_div_scale_f64 v[34:35], null, v[14:15], v[14:15], v[30:31]
	v_rcp_f64_e32 v[66:67], v[34:35]
	v_fma_f64 v[70:71], -v[34:35], v[66:67], 1.0
	v_fma_f64 v[66:67], v[66:67], v[70:71], v[66:67]
	v_fma_f64 v[70:71], -v[34:35], v[66:67], 1.0
	v_fma_f64 v[66:67], v[66:67], v[70:71], v[66:67]
	v_div_scale_f64 v[70:71], vcc_lo, v[30:31], v[14:15], v[30:31]
	v_mul_f64 v[80:81], v[70:71], v[66:67]
	v_fma_f64 v[34:35], -v[34:35], v[80:81], v[70:71]
	v_div_fmas_f64 v[34:35], v[34:35], v[66:67], v[80:81]
	v_div_fixup_f64 v[30:31], v[34:35], v[14:15], v[30:31]
	v_fma_f64 v[18:19], v[14:15], v[18:19], v[30:31]
	v_add_f64 v[18:19], v[18:19], s[4:5]
	s_mov_b32 s5, 0xbfc2994e
	s_mov_b32 s4, 0x486cd916
	v_add_f64 v[30:31], v[14:15], s[4:5]
	s_mov_b32 s5, 0x3fc2994e
	v_div_scale_f64 v[34:35], null, v[30:31], v[30:31], s[4:5]
	v_rcp_f64_e32 v[66:67], v[34:35]
	v_fma_f64 v[70:71], -v[34:35], v[66:67], 1.0
	v_fma_f64 v[66:67], v[66:67], v[70:71], v[66:67]
	v_fma_f64 v[70:71], -v[34:35], v[66:67], 1.0
	v_fma_f64 v[66:67], v[66:67], v[70:71], v[66:67]
	v_div_scale_f64 v[70:71], vcc_lo, s[4:5], v[30:31], s[4:5]
	v_mul_f64 v[80:81], v[70:71], v[66:67]
	v_fma_f64 v[34:35], -v[34:35], v[80:81], v[70:71]
	v_div_fmas_f64 v[34:35], v[34:35], v[66:67], v[80:81]
	v_div_fixup_f64 v[30:31], v[34:35], v[30:31], s[4:5]
	s_mov_b32 s4, 0xb4241f23
	s_mov_b32 s5, 0x40196d17
	v_fma_f64 v[18:19], v[18:19], v[84:85], v[30:31]
	v_fma_f64 v[30:31], v[14:15], s[8:9], s[4:5]
	s_mov_b32 s4, 0x42dc8407
	s_mov_b32 s5, 0xc07524c0
	;; [unrolled: 1-line block ×4, first 2 shown]
	v_fma_f64 v[30:31], v[14:15], v[30:31], s[4:5]
	s_mov_b32 s4, 0x58a4f161
	s_mov_b32 s5, 0x40c87006
	v_fma_f64 v[30:31], v[14:15], v[30:31], s[4:5]
	s_mov_b32 s4, 0x483433dc
	s_mov_b32 s5, 0xc11356be
	v_fma_f64 v[30:31], v[14:15], v[30:31], s[4:5]
	s_mov_b32 s4, 0x72a31b48
	s_mov_b32 s5, 0xc1ce8698
	v_div_scale_f64 v[34:35], null, v[14:15], v[14:15], s[4:5]
	v_rcp_f64_e32 v[66:67], v[34:35]
	v_fma_f64 v[70:71], -v[34:35], v[66:67], 1.0
	v_fma_f64 v[66:67], v[66:67], v[70:71], v[66:67]
	v_fma_f64 v[70:71], -v[34:35], v[66:67], 1.0
	v_fma_f64 v[66:67], v[66:67], v[70:71], v[66:67]
	v_div_scale_f64 v[70:71], vcc_lo, s[4:5], v[14:15], s[4:5]
	v_mul_f64 v[80:81], v[70:71], v[66:67]
	v_fma_f64 v[34:35], -v[34:35], v[80:81], v[70:71]
	v_div_fmas_f64 v[34:35], v[34:35], v[66:67], v[80:81]
	v_div_fixup_f64 v[34:35], v[34:35], v[14:15], s[4:5]
	s_mov_b32 s4, 0x894b0319
	s_mov_b32 s5, 0x41b60f59
	v_add_f64 v[34:35], v[34:35], s[4:5]
	s_mov_b32 s4, 0xe41336fa
	s_mov_b32 s5, 0xc18bfefa
	v_div_scale_f64 v[66:67], null, v[14:15], v[14:15], v[34:35]
	v_rcp_f64_e32 v[70:71], v[66:67]
	v_fma_f64 v[80:81], -v[66:67], v[70:71], 1.0
	v_fma_f64 v[70:71], v[70:71], v[80:81], v[70:71]
	v_fma_f64 v[80:81], -v[66:67], v[70:71], 1.0
	v_fma_f64 v[70:71], v[70:71], v[80:81], v[70:71]
	v_div_scale_f64 v[80:81], vcc_lo, v[34:35], v[14:15], v[34:35]
	v_mul_f64 v[86:87], v[80:81], v[70:71]
	v_fma_f64 v[66:67], -v[66:67], v[86:87], v[80:81]
	v_div_fmas_f64 v[66:67], v[66:67], v[70:71], v[86:87]
	v_div_fixup_f64 v[34:35], v[66:67], v[14:15], v[34:35]
	v_add_f64 v[34:35], v[34:35], s[4:5]
	s_mov_b32 s4, 0x874a6681
	s_mov_b32 s5, 0x41548be7
	v_div_scale_f64 v[66:67], null, v[14:15], v[14:15], v[34:35]
	v_rcp_f64_e32 v[70:71], v[66:67]
	v_fma_f64 v[80:81], -v[66:67], v[70:71], 1.0
	v_fma_f64 v[70:71], v[70:71], v[80:81], v[70:71]
	v_fma_f64 v[80:81], -v[66:67], v[70:71], 1.0
	v_fma_f64 v[70:71], v[70:71], v[80:81], v[70:71]
	v_div_scale_f64 v[80:81], vcc_lo, v[34:35], v[14:15], v[34:35]
	v_mul_f64 v[86:87], v[80:81], v[70:71]
	v_fma_f64 v[66:67], -v[66:67], v[86:87], v[80:81]
	v_div_fmas_f64 v[66:67], v[66:67], v[70:71], v[86:87]
	v_div_fixup_f64 v[34:35], v[66:67], v[14:15], v[34:35]
	v_fma_f64 v[30:31], v[14:15], v[30:31], v[34:35]
	v_add_f64 v[30:31], v[30:31], s[4:5]
	s_mov_b32 s5, 0xbff56cf1
	s_mov_b32 s4, 0x472aa3dd
	v_add_f64 v[34:35], v[14:15], s[4:5]
	s_mov_b32 s5, 0x3ff56cf1
	v_div_scale_f64 v[66:67], null, v[34:35], v[34:35], s[4:5]
	v_rcp_f64_e32 v[70:71], v[66:67]
	v_fma_f64 v[80:81], -v[66:67], v[70:71], 1.0
	v_fma_f64 v[70:71], v[70:71], v[80:81], v[70:71]
	v_fma_f64 v[80:81], -v[66:67], v[70:71], 1.0
	v_fma_f64 v[70:71], v[70:71], v[80:81], v[70:71]
	v_div_scale_f64 v[80:81], vcc_lo, s[4:5], v[34:35], s[4:5]
	v_mul_f64 v[86:87], v[80:81], v[70:71]
	v_fma_f64 v[66:67], -v[66:67], v[86:87], v[80:81]
	v_div_fmas_f64 v[66:67], v[66:67], v[70:71], v[86:87]
	v_div_fixup_f64 v[34:35], v[66:67], v[34:35], s[4:5]
	s_mov_b32 s4, 0x25cefe33
	s_mov_b32 s5, 0x40326987
	v_fma_f64 v[30:31], v[30:31], v[84:85], v[34:35]
	v_fma_f64 v[34:35], v[14:15], s[8:9], s[4:5]
	s_mov_b32 s4, 0xfa23cf3d
	s_mov_b32 s5, 0xc08f500e
	;; [unrolled: 1-line block ×4, first 2 shown]
	v_fma_f64 v[34:35], v[14:15], v[34:35], s[4:5]
	s_mov_b32 s4, 0xe4a29e3b
	s_mov_b32 s5, 0x40e25165
	v_fma_f64 v[34:35], v[14:15], v[34:35], s[4:5]
	s_mov_b32 s4, 0x53a7df02
	s_mov_b32 s5, 0xc12d02c5
	v_fma_f64 v[34:35], v[14:15], v[34:35], s[4:5]
	s_mov_b32 s4, 0xc850a29c
	s_mov_b32 s5, 0xc1e577d0
	v_div_scale_f64 v[66:67], null, v[14:15], v[14:15], s[4:5]
	v_rcp_f64_e32 v[70:71], v[66:67]
	v_fma_f64 v[80:81], -v[66:67], v[70:71], 1.0
	v_fma_f64 v[70:71], v[70:71], v[80:81], v[70:71]
	v_fma_f64 v[80:81], -v[66:67], v[70:71], 1.0
	v_fma_f64 v[70:71], v[70:71], v[80:81], v[70:71]
	v_div_scale_f64 v[80:81], vcc_lo, s[4:5], v[14:15], s[4:5]
	v_mul_f64 v[86:87], v[80:81], v[70:71]
	v_fma_f64 v[66:67], -v[66:67], v[86:87], v[80:81]
	v_div_fmas_f64 v[66:67], v[66:67], v[70:71], v[86:87]
	v_div_fixup_f64 v[66:67], v[66:67], v[14:15], s[4:5]
	s_mov_b32 s4, 0x6738fe48
	s_mov_b32 s5, 0x41cfc6e9
	v_add_f64 v[66:67], v[66:67], s[4:5]
	s_mov_b32 s4, 0x135ff25e
	s_mov_b32 s5, 0xc1a48f39
	v_div_scale_f64 v[70:71], null, v[14:15], v[14:15], v[66:67]
	v_rcp_f64_e32 v[80:81], v[70:71]
	v_fma_f64 v[86:87], -v[70:71], v[80:81], 1.0
	v_fma_f64 v[80:81], v[80:81], v[86:87], v[80:81]
	v_fma_f64 v[86:87], -v[70:71], v[80:81], 1.0
	v_fma_f64 v[80:81], v[80:81], v[86:87], v[80:81]
	v_div_scale_f64 v[86:87], vcc_lo, v[66:67], v[14:15], v[66:67]
	v_mul_f64 v[96:97], v[86:87], v[80:81]
	v_fma_f64 v[70:71], -v[70:71], v[96:97], v[86:87]
	v_div_fmas_f64 v[70:71], v[70:71], v[80:81], v[96:97]
	v_div_fixup_f64 v[66:67], v[70:71], v[14:15], v[66:67]
	v_add_f64 v[66:67], v[66:67], s[4:5]
	s_mov_b32 s4, 0x60bc7608
	s_mov_b32 s5, 0x416e98fa
	v_div_scale_f64 v[70:71], null, v[14:15], v[14:15], v[66:67]
	v_rcp_f64_e32 v[80:81], v[70:71]
	v_fma_f64 v[86:87], -v[70:71], v[80:81], 1.0
	v_fma_f64 v[80:81], v[80:81], v[86:87], v[80:81]
	v_fma_f64 v[86:87], -v[70:71], v[80:81], 1.0
	v_fma_f64 v[80:81], v[80:81], v[86:87], v[80:81]
	v_div_scale_f64 v[86:87], vcc_lo, v[66:67], v[14:15], v[66:67]
	v_mul_f64 v[96:97], v[86:87], v[80:81]
	v_fma_f64 v[70:71], -v[70:71], v[96:97], v[86:87]
	v_div_fmas_f64 v[70:71], v[70:71], v[80:81], v[96:97]
	v_div_fixup_f64 v[66:67], v[70:71], v[14:15], v[66:67]
	v_fma_f64 v[34:35], v[14:15], v[34:35], v[66:67]
	v_add_f64 v[34:35], v[34:35], s[4:5]
	s_mov_b32 s5, 0xc00f6a6b
	s_mov_b32 s4, 0xd7175b27
	v_add_f64 v[66:67], v[14:15], s[4:5]
	s_mov_b32 s5, 0x400f6a6b
	v_div_scale_f64 v[70:71], null, v[66:67], v[66:67], s[4:5]
	v_rcp_f64_e32 v[80:81], v[70:71]
	v_fma_f64 v[86:87], -v[70:71], v[80:81], 1.0
	v_fma_f64 v[80:81], v[80:81], v[86:87], v[80:81]
	v_fma_f64 v[86:87], -v[70:71], v[80:81], 1.0
	v_fma_f64 v[80:81], v[80:81], v[86:87], v[80:81]
	v_div_scale_f64 v[86:87], vcc_lo, s[4:5], v[66:67], s[4:5]
	v_mul_f64 v[96:97], v[86:87], v[80:81]
	v_fma_f64 v[70:71], -v[70:71], v[96:97], v[86:87]
	v_div_fmas_f64 v[70:71], v[70:71], v[80:81], v[96:97]
	v_div_fixup_f64 v[66:67], v[70:71], v[66:67], s[4:5]
	s_mov_b32 s4, 0x3d287e7
	s_mov_b32 s5, 0xbfd753a2
	v_fma_f64 v[34:35], v[34:35], v[84:85], v[66:67]
	v_fma_f64 v[66:67], v[14:15], s[8:9], s[4:5]
	s_mov_b32 s4, 0x4c53000c
	s_mov_b32 s5, 0x402f7fcd
	;; [unrolled: 1-line block ×4, first 2 shown]
	v_fma_f64 v[66:67], v[14:15], v[66:67], s[4:5]
	s_mov_b32 s4, 0xd247dd83
	s_mov_b32 s5, 0xc084778d
	v_fma_f64 v[66:67], v[14:15], v[66:67], s[4:5]
	s_mov_b32 s4, 0x40e039ea
	s_mov_b32 s5, 0x40d0aec0
	;; [unrolled: 3-line block ×4, first 2 shown]
	v_div_scale_f64 v[70:71], null, v[14:15], v[14:15], s[4:5]
	v_rcp_f64_e32 v[80:81], v[70:71]
	v_fma_f64 v[86:87], -v[70:71], v[80:81], 1.0
	v_fma_f64 v[80:81], v[80:81], v[86:87], v[80:81]
	v_fma_f64 v[86:87], -v[70:71], v[80:81], 1.0
	v_fma_f64 v[80:81], v[80:81], v[86:87], v[80:81]
	v_div_scale_f64 v[86:87], vcc_lo, s[4:5], v[14:15], s[4:5]
	v_mul_f64 v[96:97], v[86:87], v[80:81]
	v_fma_f64 v[70:71], -v[70:71], v[96:97], v[86:87]
	v_div_fmas_f64 v[70:71], v[70:71], v[80:81], v[96:97]
	v_div_fixup_f64 v[70:71], v[70:71], v[14:15], s[4:5]
	s_mov_b32 s4, 0x88468124
	s_mov_b32 s5, 0xc16f75ee
	v_add_f64 v[70:71], v[70:71], s[4:5]
	s_mov_b32 s4, 0xb3692b7d
	s_mov_b32 s5, 0x4146a539
	v_div_scale_f64 v[80:81], null, v[14:15], v[14:15], v[70:71]
	v_rcp_f64_e32 v[86:87], v[80:81]
	v_fma_f64 v[96:97], -v[80:81], v[86:87], 1.0
	v_fma_f64 v[86:87], v[86:87], v[96:97], v[86:87]
	v_fma_f64 v[96:97], -v[80:81], v[86:87], 1.0
	v_fma_f64 v[86:87], v[86:87], v[96:97], v[86:87]
	v_div_scale_f64 v[96:97], vcc_lo, v[70:71], v[14:15], v[70:71]
	v_mul_f64 v[113:114], v[96:97], v[86:87]
	v_fma_f64 v[80:81], -v[80:81], v[113:114], v[96:97]
	v_div_fmas_f64 v[80:81], v[80:81], v[86:87], v[113:114]
	v_div_fixup_f64 v[70:71], v[80:81], v[14:15], v[70:71]
	v_fma_f64 v[66:67], v[14:15], v[66:67], v[70:71]
	v_add_f64 v[66:67], v[66:67], s[4:5]
	s_mov_b32 s5, 0xc0212d61
	s_mov_b32 s4, 0xa833213e
	v_add_f64 v[70:71], v[14:15], s[4:5]
	s_mov_b32 s5, 0x40212d61
	v_div_scale_f64 v[80:81], null, v[70:71], v[70:71], s[4:5]
	v_rcp_f64_e32 v[86:87], v[80:81]
	v_fma_f64 v[96:97], -v[80:81], v[86:87], 1.0
	v_fma_f64 v[86:87], v[86:87], v[96:97], v[86:87]
	v_fma_f64 v[96:97], -v[80:81], v[86:87], 1.0
	v_fma_f64 v[86:87], v[86:87], v[96:97], v[86:87]
	v_div_scale_f64 v[96:97], vcc_lo, s[4:5], v[70:71], s[4:5]
	v_mul_f64 v[113:114], v[96:97], v[86:87]
	v_fma_f64 v[80:81], -v[80:81], v[113:114], v[96:97]
	v_div_fmas_f64 v[80:81], v[80:81], v[86:87], v[113:114]
	v_div_fixup_f64 v[70:71], v[80:81], v[70:71], s[4:5]
	s_mov_b32 s4, 0x999f3b2
	s_mov_b32 s5, 0x3f2d856f
	v_fma_f64 v[68:69], v[82:83], s[4:5], v[68:69]
	s_mov_b32 s4, 0x73858adf
	s_mov_b32 s5, 0xbf82c698
	v_fma_f64 v[66:67], v[66:67], v[84:85], v[70:71]
	v_fma_f64 v[70:71], v[14:15], s[8:9], s[4:5]
	s_mov_b32 s4, 0xca6d13a7
	s_mov_b32 s5, 0x3fdd9476
	;; [unrolled: 1-line block ×4, first 2 shown]
	v_fma_f64 v[70:71], v[14:15], v[70:71], s[4:5]
	s_mov_b32 s4, 0xcbc4d9e7
	s_mov_b32 s5, 0xc033b1c2
	v_fma_f64 v[70:71], v[14:15], v[70:71], s[4:5]
	s_mov_b32 s4, 0x6205102
	s_mov_b32 s5, 0x407f32b5
	;; [unrolled: 3-line block ×4, first 2 shown]
	v_div_scale_f64 v[80:81], null, v[14:15], v[14:15], s[4:5]
	v_rcp_f64_e32 v[86:87], v[80:81]
	v_fma_f64 v[96:97], -v[80:81], v[86:87], 1.0
	v_fma_f64 v[86:87], v[86:87], v[96:97], v[86:87]
	v_fma_f64 v[96:97], -v[80:81], v[86:87], 1.0
	v_fma_f64 v[86:87], v[86:87], v[96:97], v[86:87]
	v_div_scale_f64 v[96:97], vcc_lo, s[4:5], v[14:15], s[4:5]
	v_mul_f64 v[113:114], v[96:97], v[86:87]
	v_fma_f64 v[80:81], -v[80:81], v[113:114], v[96:97]
	v_div_fmas_f64 v[80:81], v[80:81], v[86:87], v[113:114]
	v_div_fixup_f64 v[80:81], v[80:81], v[14:15], s[4:5]
	s_mov_b32 s4, 0x4e0bb8d1
	s_mov_b32 s5, 0xc1699482
	v_add_f64 v[80:81], v[80:81], s[4:5]
	s_mov_b32 s4, 0xfba9940e
	s_mov_b32 s5, 0x4131585c
	v_div_scale_f64 v[86:87], null, v[14:15], v[14:15], v[80:81]
	v_rcp_f64_e32 v[96:97], v[86:87]
	v_fma_f64 v[113:114], -v[86:87], v[96:97], 1.0
	v_fma_f64 v[96:97], v[96:97], v[113:114], v[96:97]
	v_fma_f64 v[113:114], -v[86:87], v[96:97], 1.0
	v_fma_f64 v[96:97], v[96:97], v[113:114], v[96:97]
	v_div_scale_f64 v[113:114], vcc_lo, v[80:81], v[14:15], v[80:81]
	v_mul_f64 v[115:116], v[113:114], v[96:97]
	v_fma_f64 v[86:87], -v[86:87], v[115:116], v[113:114]
	v_div_fmas_f64 v[86:87], v[86:87], v[96:97], v[115:116]
	v_div_fixup_f64 v[80:81], v[86:87], v[14:15], v[80:81]
	v_add_f64 v[80:81], v[80:81], s[4:5]
	s_mov_b32 s4, 0xd53b761
	s_mov_b32 s5, 0xc0a5fe06
	v_div_scale_f64 v[86:87], null, v[14:15], v[14:15], v[80:81]
	v_rcp_f64_e32 v[96:97], v[86:87]
	v_fma_f64 v[113:114], -v[86:87], v[96:97], 1.0
	v_fma_f64 v[96:97], v[96:97], v[113:114], v[96:97]
	v_fma_f64 v[113:114], -v[86:87], v[96:97], 1.0
	v_fma_f64 v[96:97], v[96:97], v[113:114], v[96:97]
	v_div_scale_f64 v[113:114], vcc_lo, v[80:81], v[14:15], v[80:81]
	v_mul_f64 v[115:116], v[113:114], v[96:97]
	v_fma_f64 v[86:87], -v[86:87], v[115:116], v[113:114]
	v_div_fmas_f64 v[86:87], v[86:87], v[96:97], v[115:116]
	v_div_fixup_f64 v[80:81], v[86:87], v[14:15], v[80:81]
	v_fma_f64 v[70:71], v[14:15], v[70:71], v[80:81]
	v_add_f64 v[70:71], v[70:71], s[4:5]
	s_mov_b32 s4, 0x5a77e739
	s_mov_b32 s5, 0x3f93bba1
	v_mul_f64 v[70:71], v[70:71], v[84:85]
	v_fma_f64 v[70:71], v[82:83], s[4:5], v[70:71]
	s_mov_b32 s4, 0xdb9a5984
	s_mov_b32 s5, 0xbfa21ea1
	v_fma_f64 v[80:81], v[14:15], s[8:9], s[4:5]
	s_mov_b32 s4, 0xf7a451f9
	s_mov_b32 s5, 0x40009fb0
	;; [unrolled: 3-line block ×6, first 2 shown]
	v_div_scale_f64 v[86:87], null, v[14:15], v[14:15], s[4:5]
	v_rcp_f64_e32 v[96:97], v[86:87]
	v_fma_f64 v[113:114], -v[86:87], v[96:97], 1.0
	v_fma_f64 v[96:97], v[96:97], v[113:114], v[96:97]
	v_fma_f64 v[113:114], -v[86:87], v[96:97], 1.0
	v_fma_f64 v[96:97], v[96:97], v[113:114], v[96:97]
	v_div_scale_f64 v[113:114], vcc_lo, s[4:5], v[14:15], s[4:5]
	v_mul_f64 v[115:116], v[113:114], v[96:97]
	v_fma_f64 v[86:87], -v[86:87], v[115:116], v[113:114]
	v_div_fmas_f64 v[86:87], v[86:87], v[96:97], v[115:116]
	v_div_fixup_f64 v[86:87], v[86:87], v[14:15], s[4:5]
	s_mov_b32 s4, 0xfa71469f
	s_mov_b32 s5, 0xc1541171
	v_add_f64 v[86:87], v[86:87], s[4:5]
	s_mov_b32 s4, 0xcd4be3bf
	s_mov_b32 s5, 0x4127693e
	v_div_scale_f64 v[96:97], null, v[14:15], v[14:15], v[86:87]
	v_rcp_f64_e32 v[113:114], v[96:97]
	v_fma_f64 v[115:116], -v[96:97], v[113:114], 1.0
	v_fma_f64 v[113:114], v[113:114], v[115:116], v[113:114]
	v_fma_f64 v[115:116], -v[96:97], v[113:114], 1.0
	v_fma_f64 v[113:114], v[113:114], v[115:116], v[113:114]
	v_div_scale_f64 v[115:116], vcc_lo, v[86:87], v[14:15], v[86:87]
	v_mul_f64 v[117:118], v[115:116], v[113:114]
	v_fma_f64 v[96:97], -v[96:97], v[117:118], v[115:116]
	v_div_fmas_f64 v[96:97], v[96:97], v[113:114], v[117:118]
	v_div_fixup_f64 v[86:87], v[96:97], v[14:15], v[86:87]
	v_fma_f64 v[80:81], v[14:15], v[80:81], v[86:87]
	v_add_f64 v[80:81], v[80:81], s[4:5]
	s_mov_b32 s4, 0x41317cef
	s_mov_b32 s5, 0x3fce036f
	v_mul_f64 v[80:81], v[80:81], v[84:85]
	v_fma_f64 v[80:81], v[82:83], s[4:5], v[80:81]
	s_mov_b32 s4, 0xb4d0174d
	s_mov_b32 s5, 0x3fc91e26
	v_div_scale_f64 v[86:87], null, v[14:15], v[14:15], s[4:5]
	v_rcp_f64_e32 v[96:97], v[86:87]
	v_fma_f64 v[113:114], -v[86:87], v[96:97], 1.0
	v_fma_f64 v[96:97], v[96:97], v[113:114], v[96:97]
	v_fma_f64 v[113:114], -v[86:87], v[96:97], 1.0
	v_fma_f64 v[96:97], v[96:97], v[113:114], v[96:97]
	v_div_scale_f64 v[113:114], vcc_lo, s[4:5], v[14:15], s[4:5]
	v_mul_f64 v[115:116], v[113:114], v[96:97]
	v_fma_f64 v[86:87], -v[86:87], v[115:116], v[113:114]
	v_div_fmas_f64 v[86:87], v[86:87], v[96:97], v[115:116]
	v_div_fixup_f64 v[86:87], v[86:87], v[14:15], s[4:5]
	s_mov_b32 s4, 0x80245b5f
	s_mov_b32 s5, 0xbfdfce11
	v_add_f64 v[86:87], v[86:87], s[4:5]
	s_mov_b32 s4, 0x6403a8cf
	s_mov_b32 s5, 0xbf0f8a14
	v_div_scale_f64 v[96:97], null, v[14:15], v[14:15], v[86:87]
	v_rcp_f64_e32 v[113:114], v[96:97]
	v_fma_f64 v[115:116], -v[96:97], v[113:114], 1.0
	v_fma_f64 v[113:114], v[113:114], v[115:116], v[113:114]
	v_fma_f64 v[115:116], -v[96:97], v[113:114], 1.0
	v_fma_f64 v[113:114], v[113:114], v[115:116], v[113:114]
	v_div_scale_f64 v[115:116], vcc_lo, v[86:87], v[14:15], v[86:87]
	v_mul_f64 v[117:118], v[115:116], v[113:114]
	v_fma_f64 v[96:97], -v[96:97], v[117:118], v[115:116]
	v_div_fmas_f64 v[96:97], v[96:97], v[113:114], v[117:118]
	v_div_fixup_f64 v[14:15], v[96:97], v[14:15], v[86:87]
	v_add_f64 v[14:15], v[14:15], s[4:5]
	v_fma_f64 v[14:15], v[14:15], v[84:85], v[82:83]
	v_add_f64 v[14:15], v[14:15], -v[80:81]
	v_add_f64 v[14:15], v[14:15], -v[70:71]
	;; [unrolled: 1-line block ×3, first 2 shown]
                                        ; implicit-def: $vgpr14_vgpr15
.LBB0_67:
	s_andn2_saveexec_b32 s88, s6
	s_cbranch_execz .LBB0_73
; %bb.68:
	s_mov_b32 s4, 0x54442d15
	s_mov_b32 s5, 0x3fe921fb
                                        ; implicit-def: $vgpr68_vgpr69
                                        ; implicit-def: $vgpr70_vgpr71
                                        ; implicit-def: $vgpr80_vgpr81
                                        ; implicit-def: $vgpr84_vgpr85
	v_div_scale_f64 v[18:19], null, v[14:15], v[14:15], s[4:5]
	v_div_scale_f64 v[66:67], vcc_lo, s[4:5], v[14:15], s[4:5]
	v_rcp_f64_e32 v[30:31], v[18:19]
	v_fma_f64 v[34:35], -v[18:19], v[30:31], 1.0
	v_fma_f64 v[30:31], v[30:31], v[34:35], v[30:31]
	v_fma_f64 v[34:35], -v[18:19], v[30:31], 1.0
	v_fma_f64 v[30:31], v[30:31], v[34:35], v[30:31]
	v_mul_f64 v[34:35], v[66:67], v[30:31]
	v_fma_f64 v[18:19], -v[18:19], v[34:35], v[66:67]
	v_div_fmas_f64 v[18:19], v[18:19], v[30:31], v[34:35]
	v_div_fixup_f64 v[18:19], v[18:19], v[14:15], s[4:5]
	s_mov_b32 s5, exec_lo
	v_cmp_gt_f64_e32 vcc_lo, 0x10000000, v[18:19]
	v_cndmask_b32_e64 v30, 0, 0x100, vcc_lo
	v_ldexp_f64 v[18:19], v[18:19], v30
	v_rsq_f64_e32 v[30:31], v[18:19]
	v_mul_f64 v[34:35], v[18:19], v[30:31]
	v_mul_f64 v[30:31], v[30:31], 0.5
	v_fma_f64 v[66:67], -v[30:31], v[34:35], 0.5
	v_fma_f64 v[34:35], v[34:35], v[66:67], v[34:35]
	v_fma_f64 v[30:31], v[30:31], v[66:67], v[30:31]
	v_fma_f64 v[66:67], -v[34:35], v[34:35], v[18:19]
	v_fma_f64 v[34:35], v[66:67], v[30:31], v[34:35]
	v_fma_f64 v[66:67], -v[34:35], v[34:35], v[18:19]
	v_fma_f64 v[30:31], v[66:67], v[30:31], v[34:35]
	v_cndmask_b32_e64 v34, 0, 0xffffff80, vcc_lo
	v_cmp_class_f64_e64 vcc_lo, v[18:19], 0x260
                                        ; implicit-def: $vgpr66_vgpr67
	v_ldexp_f64 v[30:31], v[30:31], v34
                                        ; implicit-def: $vgpr34_vgpr35
	v_cndmask_b32_e32 v83, v31, v19, vcc_lo
	v_cndmask_b32_e32 v82, v30, v18, vcc_lo
                                        ; implicit-def: $vgpr30_vgpr31
                                        ; implicit-def: $vgpr18_vgpr19
	v_cmpx_ge_f64_e32 0x404a8000, v[14:15]
	s_xor_b32 s89, exec_lo, s5
	s_cbranch_execz .LBB0_70
; %bb.69:
	s_mov_b32 s7, 0xc0212d61
	s_mov_b32 s6, 0xa833213e
	;; [unrolled: 1-line block ×3, first 2 shown]
	v_add_f64 v[18:19], v[14:15], s[6:7]
	s_mov_b32 s7, 0x40212d61
	s_mov_b32 s8, 0xd7175b27
	;; [unrolled: 1-line block ×21, first 2 shown]
	v_div_scale_f64 v[30:31], null, v[18:19], v[18:19], s[6:7]
	s_mov_b32 s28, 0x1852b7b0
	s_mov_b32 s29, 0x3f56c16c
	;; [unrolled: 1-line block ×18, first 2 shown]
	v_rcp_f64_e32 v[34:35], v[30:31]
	v_fma_f64 v[66:67], -v[30:31], v[34:35], 1.0
	v_fma_f64 v[34:35], v[34:35], v[66:67], v[34:35]
	v_fma_f64 v[66:67], -v[30:31], v[34:35], 1.0
	v_fma_f64 v[34:35], v[34:35], v[66:67], v[34:35]
	v_div_scale_f64 v[66:67], vcc_lo, s[6:7], v[18:19], s[6:7]
	v_mul_f64 v[68:69], v[66:67], v[34:35]
	v_fma_f64 v[30:31], -v[30:31], v[68:69], v[66:67]
	v_div_fmas_f64 v[30:31], v[30:31], v[34:35], v[68:69]
	v_add_f64 v[34:35], v[14:15], s[8:9]
	s_mov_b32 s9, 0x400f6a6b
	v_div_fixup_f64 v[18:19], v[30:31], v[18:19], s[6:7]
	v_div_scale_f64 v[66:67], null, v[34:35], v[34:35], s[8:9]
	s_mov_b32 s6, 0xc363f0e3
	s_mov_b32 s7, 0xbf6eec89
	v_rcp_f64_e32 v[68:69], v[66:67]
	v_fma_f64 v[70:71], -v[66:67], v[68:69], 1.0
	v_fma_f64 v[68:69], v[68:69], v[70:71], v[68:69]
	v_fma_f64 v[70:71], -v[66:67], v[68:69], 1.0
	v_fma_f64 v[68:69], v[68:69], v[70:71], v[68:69]
	v_div_scale_f64 v[70:71], vcc_lo, s[8:9], v[34:35], s[8:9]
	v_mul_f64 v[80:81], v[70:71], v[68:69]
	v_fma_f64 v[66:67], -v[66:67], v[80:81], v[70:71]
	v_div_fmas_f64 v[66:67], v[66:67], v[68:69], v[80:81]
	v_frexp_mant_f64_e32 v[68:69], v[14:15]
	v_div_fixup_f64 v[30:31], v[66:67], v[34:35], s[8:9]
	v_cmp_gt_f64_e64 s4, s[10:11], v[68:69]
	s_mov_b32 s8, 0x2abb056e
	s_mov_b32 s9, 0x3f2b4d38
	v_cndmask_b32_e64 v70, 0, 1, s4
	v_ldexp_f64 v[68:69], v[68:69], v70
	v_add_f64 v[70:71], v[68:69], 1.0
	v_rcp_f64_e32 v[80:81], v[70:71]
	v_fma_f64 v[84:85], -v[70:71], v[80:81], 1.0
	v_fma_f64 v[80:81], v[84:85], v[80:81], v[80:81]
	v_fma_f64 v[84:85], -v[70:71], v[80:81], 1.0
	v_fma_f64 v[80:81], v[84:85], v[80:81], v[80:81]
	v_add_f64 v[84:85], v[70:71], -1.0
	v_add_f64 v[84:85], v[68:69], -v[84:85]
	v_add_f64 v[68:69], v[68:69], -1.0
	v_mul_f64 v[86:87], v[68:69], v[80:81]
	v_mul_f64 v[96:97], v[70:71], v[86:87]
	v_fma_f64 v[70:71], v[86:87], v[70:71], -v[96:97]
	v_fma_f64 v[70:71], v[86:87], v[84:85], v[70:71]
	v_add_f64 v[84:85], v[96:97], v[70:71]
	v_add_f64 v[96:97], v[84:85], -v[96:97]
	v_add_f64 v[70:71], v[96:97], -v[70:71]
	;; [unrolled: 1-line block ×5, first 2 shown]
	v_add_f64 v[68:69], v[70:71], v[68:69]
	v_add_f64 v[68:69], v[96:97], v[68:69]
	v_mul_f64 v[68:69], v[80:81], v[68:69]
	v_add_f64 v[80:81], v[86:87], v[68:69]
	v_add_f64 v[70:71], v[80:81], -v[86:87]
	v_add_f64 v[84:85], v[68:69], -v[70:71]
	v_mul_f64 v[68:69], v[80:81], v[80:81]
	v_add_f64 v[86:87], v[84:85], v[84:85]
	v_fma_f64 v[70:71], v[80:81], v[80:81], -v[68:69]
	v_fma_f64 v[70:71], v[80:81], v[86:87], v[70:71]
	v_add_f64 v[86:87], v[68:69], v[70:71]
	v_add_f64 v[68:69], v[86:87], -v[68:69]
	v_add_f64 v[68:69], v[70:71], -v[68:69]
	v_fma_f64 v[70:71], v[86:87], s[14:15], s[12:13]
	s_mov_b32 s12, 0x47e6c9c2
	s_mov_b32 s13, 0x3fc110ef
	;; [unrolled: 1-line block ×4, first 2 shown]
	v_fma_f64 v[70:71], v[86:87], v[70:71], s[16:17]
	s_mov_b32 s17, 0x3c7abc9e
	s_mov_b32 s16, s14
	v_fma_f64 v[70:71], v[86:87], v[70:71], s[12:13]
	s_mov_b32 s12, 0xcfa74449
	s_mov_b32 s13, 0x3fc3b13b
	;; [unrolled: 3-line block ×7, first 2 shown]
	v_mul_f64 v[96:97], v[86:87], v[70:71]
	v_fma_f64 v[113:114], v[86:87], v[70:71], -v[96:97]
	v_fma_f64 v[70:71], v[68:69], v[70:71], v[113:114]
	v_mul_f64 v[113:114], v[80:81], v[86:87]
	v_fma_f64 v[115:116], v[86:87], v[80:81], -v[113:114]
	v_fma_f64 v[86:87], v[86:87], v[84:85], v[115:116]
	v_add_f64 v[115:116], v[96:97], v[70:71]
	v_ldexp_f64 v[84:85], v[84:85], 1
	v_fma_f64 v[68:69], v[68:69], v[80:81], v[86:87]
	v_add_f64 v[96:97], v[115:116], -v[96:97]
	v_ldexp_f64 v[80:81], v[80:81], 1
	v_add_f64 v[70:71], v[70:71], -v[96:97]
	v_add_f64 v[96:97], v[115:116], s[10:11]
	s_mov_b32 s11, 0xbfe55555
	v_add_f64 v[117:118], v[96:97], s[10:11]
	s_mov_b32 s10, 0xd5df274d
	s_mov_b32 s11, 0x3c8543b0
	v_add_f64 v[70:71], v[70:71], s[10:11]
	s_mov_b32 s11, 0xbff56cf1
	s_mov_b32 s10, 0x472aa3dd
	v_add_f64 v[115:116], v[115:116], -v[117:118]
	v_add_f64 v[70:71], v[70:71], v[115:116]
	v_add_f64 v[86:87], v[96:97], v[70:71]
	v_add_f64 v[96:97], v[96:97], -v[86:87]
	v_add_f64 v[70:71], v[70:71], v[96:97]
	v_add_f64 v[96:97], v[113:114], v[68:69]
	v_mul_f64 v[115:116], v[96:97], v[86:87]
	v_fma_f64 v[117:118], v[96:97], v[86:87], -v[115:116]
	v_fma_f64 v[70:71], v[96:97], v[70:71], v[117:118]
	v_add_f64 v[96:97], v[96:97], -v[113:114]
	v_add_f64 v[68:69], v[68:69], -v[96:97]
	v_fma_f64 v[86:87], v[68:69], v[86:87], v[70:71]
	v_add_f64 v[68:69], v[14:15], s[10:11]
	s_mov_b32 s11, 0x3ff56cf1
	v_div_scale_f64 v[70:71], null, v[68:69], v[68:69], s[10:11]
	v_rcp_f64_e32 v[96:97], v[70:71]
	v_fma_f64 v[113:114], -v[70:71], v[96:97], 1.0
	v_fma_f64 v[96:97], v[96:97], v[113:114], v[96:97]
	v_fma_f64 v[113:114], -v[70:71], v[96:97], 1.0
	v_fma_f64 v[96:97], v[96:97], v[113:114], v[96:97]
	v_div_scale_f64 v[113:114], vcc_lo, s[10:11], v[68:69], s[10:11]
	v_mul_f64 v[117:118], v[113:114], v[96:97]
	v_fma_f64 v[70:71], -v[70:71], v[117:118], v[113:114]
	v_div_fmas_f64 v[70:71], v[70:71], v[96:97], v[117:118]
	v_add_f64 v[96:97], v[115:116], v[86:87]
	v_cmp_eq_f64_e32 vcc_lo, 1.0, v[14:15]
	v_div_fixup_f64 v[68:69], v[70:71], v[68:69], s[10:11]
	v_add_f64 v[113:114], v[96:97], -v[115:116]
	s_mov_b32 s10, 0x3f893c63
	s_mov_b32 s11, 0xbf89f358
	v_add_f64 v[86:87], v[86:87], -v[113:114]
	v_add_f64 v[113:114], v[80:81], v[96:97]
	v_add_f64 v[84:85], v[84:85], v[86:87]
	v_frexp_exp_i32_f64_e32 v86, v[14:15]
	v_add_f64 v[80:81], v[113:114], -v[80:81]
	v_subrev_co_ci_u32_e64 v86, null, 0, v86, s4
	s_mov_b32 s4, s12
	v_add_f64 v[80:81], v[96:97], -v[80:81]
	v_cvt_f64_i32_e32 v[86:87], v86
	v_add_f64 v[80:81], v[84:85], v[80:81]
	v_mul_f64 v[96:97], v[86:87], s[4:5]
	v_fma_f64 v[115:116], v[86:87], s[4:5], -v[96:97]
	s_mov_b32 s5, 0xbff71547
	s_mov_b32 s4, 0x652b82fe
	v_fma_f64 v[86:87], v[86:87], s[16:17], v[115:116]
	s_mov_b32 s17, 0xbfc2994e
	s_mov_b32 s16, 0x486cd916
	v_add_f64 v[84:85], v[96:97], v[86:87]
	v_add_f64 v[96:97], v[84:85], -v[96:97]
	v_add_f64 v[86:87], v[86:87], -v[96:97]
	v_add_f64 v[96:97], v[113:114], v[80:81]
	v_add_f64 v[115:116], v[84:85], v[96:97]
	v_add_f64 v[113:114], v[96:97], -v[113:114]
	v_add_f64 v[117:118], v[115:116], -v[84:85]
	;; [unrolled: 1-line block ×6, first 2 shown]
	v_add_f64 v[84:85], v[96:97], v[84:85]
	v_add_f64 v[96:97], v[86:87], v[80:81]
	v_add_f64 v[113:114], v[96:97], -v[86:87]
	v_add_f64 v[84:85], v[96:97], v[84:85]
	v_add_f64 v[80:81], v[80:81], -v[113:114]
	v_add_f64 v[113:114], v[96:97], -v[113:114]
	;; [unrolled: 1-line block ×3, first 2 shown]
	v_add_f64 v[80:81], v[80:81], v[86:87]
	v_add_f64 v[86:87], v[115:116], v[84:85]
	v_add_f64 v[96:97], v[86:87], -v[115:116]
	v_add_f64 v[84:85], v[84:85], -v[96:97]
	v_add_f64 v[80:81], v[80:81], v[84:85]
	v_add_f64 v[84:85], v[86:87], v[80:81]
	v_add_f64 v[86:87], v[84:85], -v[86:87]
	v_add_f64 v[80:81], v[80:81], -v[86:87]
	v_mov_b32_e32 v86, 0x3ff00000
	v_cndmask_b32_e32 v87, 0x40100000, v86, vcc_lo
	v_mov_b32_e32 v86, 0
	v_mul_f64 v[96:97], v[86:87], v[84:85]
	v_fma_f64 v[84:85], v[86:87], v[84:85], -v[96:97]
	v_fma_f64 v[80:81], v[86:87], v[80:81], v[84:85]
	v_add_f64 v[84:85], v[14:15], s[16:17]
	s_mov_b32 s17, 0x3fc2994e
	v_div_scale_f64 v[86:87], null, v[84:85], v[84:85], s[16:17]
	v_rcp_f64_e32 v[113:114], v[86:87]
	v_fma_f64 v[115:116], -v[86:87], v[113:114], 1.0
	v_fma_f64 v[113:114], v[113:114], v[115:116], v[113:114]
	v_fma_f64 v[115:116], -v[86:87], v[113:114], 1.0
	v_fma_f64 v[113:114], v[113:114], v[115:116], v[113:114]
	v_div_scale_f64 v[115:116], vcc_lo, s[16:17], v[84:85], s[16:17]
	v_mul_f64 v[117:118], v[115:116], v[113:114]
	v_fma_f64 v[86:87], -v[86:87], v[117:118], v[115:116]
	v_div_fmas_f64 v[86:87], v[86:87], v[113:114], v[117:118]
	v_cmp_class_f64_e64 vcc_lo, v[96:97], 0x204
	v_add_f64 v[113:114], v[96:97], v[80:81]
	v_div_fixup_f64 v[70:71], v[86:87], v[84:85], s[16:17]
	s_mov_b32 s16, 0xf4720604
	v_cndmask_b32_e32 v116, v114, v97, vcc_lo
	v_cndmask_b32_e32 v115, v113, v96, vcc_lo
	v_add_f64 v[96:97], v[113:114], -v[96:97]
	s_mov_b32 s17, 0xbfbe7de0
	v_cmp_neq_f64_e64 vcc_lo, 0x7ff00000, |v[115:116]|
	v_add_f64 v[80:81], v[80:81], -v[96:97]
	v_mul_f64 v[96:97], v[14:15], s[4:5]
	s_mov_b32 s5, 0x3ff71547
	v_mul_f64 v[113:114], v[115:116], s[4:5]
	v_cmp_ngt_f64_e64 s4, 0xc090cc00, v[115:116]
	v_cndmask_b32_e32 v81, 0, v81, vcc_lo
	v_rndne_f64_e32 v[34:35], v[96:97]
	v_cndmask_b32_e32 v80, 0, v80, vcc_lo
	v_cmp_nlt_f64_e32 vcc_lo, 0x40900000, v[115:116]
	v_rndne_f64_e32 v[113:114], v[113:114]
	v_fma_f64 v[66:67], v[34:35], s[12:13], -v[14:15]
	s_and_b32 s5, s4, vcc_lo
	v_fma_f64 v[115:116], v[113:114], s[12:13], v[115:116]
	s_mov_b32 s12, 0x326ec13e
	s_mov_b32 s13, 0x3f443286
	v_fma_f64 v[66:67], v[34:35], s[14:15], v[66:67]
	v_cvt_i32_f64_e32 v34, v[34:35]
	v_fma_f64 v[115:116], v[113:114], s[14:15], v[115:116]
	v_cvt_i32_f64_e32 v113, v[113:114]
	s_mov_b32 s14, 0x72d00ae0
	s_mov_b32 s15, 0x3fb4d9f0
	v_fma_f64 v[84:85], v[66:67], s[20:21], s[18:19]
	v_fma_f64 v[117:118], v[115:116], s[20:21], s[18:19]
	s_mov_b32 s18, 0x73219d23
	s_mov_b32 s19, 0xbf61f398
	;; [unrolled: 1-line block ×4, first 2 shown]
	v_fma_f64 v[84:85], v[66:67], v[84:85], s[22:23]
	v_fma_f64 v[117:118], v[115:116], v[117:118], s[22:23]
	s_mov_b32 s22, 0x375fd124
	s_mov_b32 s23, 0xbfa707e8
	v_fma_f64 v[84:85], v[66:67], v[84:85], s[24:25]
	v_fma_f64 v[117:118], v[115:116], v[117:118], s[24:25]
	s_mov_b32 s24, 0xca57d62
	s_mov_b32 s25, 0xbf4fa613
	;; [unrolled: 4-line block ×8, first 2 shown]
	v_fma_f64 v[84:85], v[66:67], v[84:85], 1.0
	v_fma_f64 v[117:118], v[115:116], v[117:118], 1.0
	;; [unrolled: 1-line block ×4, first 2 shown]
	v_ldexp_f64 v[34:35], v[66:67], v34
	v_fma_f64 v[66:67], v[14:15], s[24:25], s[22:23]
	v_ldexp_f64 v[113:114], v[115:116], v113
	v_fma_f64 v[84:85], v[14:15], v[66:67], s[26:27]
	v_fma_f64 v[66:67], v[14:15], s[40:41], s[28:29]
	v_cndmask_b32_e32 v114, 0x7ff00000, v114, vcc_lo
	v_cndmask_b32_e64 v113, 0, v113, s5
	v_cndmask_b32_e64 v114, 0, v114, s4
	s_mov_b32 s4, 0x813620f6
	s_mov_b32 s5, 0x3f957d47
	v_fma_f64 v[80:81], v[113:114], v[80:81], v[113:114]
	v_cmp_class_f64_e64 vcc_lo, v[113:114], 0x204
	v_fma_f64 v[86:87], v[14:15], v[66:67], s[42:43]
	v_fma_f64 v[66:67], v[14:15], s[46:47], s[44:45]
	v_cndmask_b32_e32 v81, v81, v114, vcc_lo
	v_cndmask_b32_e32 v80, v80, v113, vcc_lo
	v_mul_f64 v[80:81], v[34:35], |v[80:81]|
	v_fma_f64 v[34:35], v[14:15], s[18:19], s[16:17]
	v_fma_f64 v[96:97], v[14:15], v[66:67], s[56:57]
	;; [unrolled: 1-line block ×3, first 2 shown]
	v_readlane_b32 s56, v124, 4
	v_readlane_b32 s57, v124, 5
	v_fma_f64 v[34:35], v[14:15], v[34:35], s[20:21]
	v_fma_f64 v[113:114], v[14:15], v[66:67], s[62:63]
	;; [unrolled: 1-line block ×3, first 2 shown]
	v_readlane_b32 s62, v124, 6
	v_readlane_b32 s63, v124, 7
	v_fma_f64 v[115:116], v[14:15], v[66:67], s[14:15]
	v_fma_f64 v[66:67], v[14:15], s[8:9], s[6:7]
	s_mov_b32 s6, 0x5a77e739
	s_mov_b32 s7, 0x3f93bba1
	v_fma_f64 v[14:15], v[14:15], v[66:67], s[4:5]
	v_fma_f64 v[66:67], v[34:35], v[80:81], v[18:19]
	;; [unrolled: 1-line block ×4, first 2 shown]
	v_mul_f64 v[68:69], v[115:116], v[80:81]
	s_mov_b32 s4, 0x41317cef
	s_mov_b32 s5, 0x3fce036f
	v_fma_f64 v[18:19], v[96:97], v[80:81], v[70:71]
	v_mul_f64 v[70:71], v[113:114], v[80:81]
	v_mul_f64 v[14:15], v[14:15], v[80:81]
	v_fma_f64 v[80:81], v[82:83], s[4:5], v[68:69]
	s_mov_b32 s4, 0x999f3b2
	s_mov_b32 s5, 0x3f2d856f
	v_fma_f64 v[68:69], v[82:83], s[4:5], v[70:71]
	v_fma_f64 v[70:71], v[82:83], s[6:7], v[14:15]
	v_add_f64 v[14:15], v[82:83], -v[80:81]
                                        ; implicit-def: $vgpr82_vgpr83
	v_add_f64 v[14:15], v[14:15], -v[70:71]
	v_add_f64 v[84:85], v[14:15], -v[68:69]
                                        ; implicit-def: $vgpr14_vgpr15
.LBB0_70:
	s_andn2_saveexec_b32 s4, s89
	s_cbranch_execz .LBB0_72
; %bb.71:
	s_mov_b32 s7, 0xbfc2994e
	s_mov_b32 s6, 0x486cd916
	;; [unrolled: 1-line block ×3, first 2 shown]
	v_add_f64 v[18:19], v[14:15], s[6:7]
	s_mov_b32 s7, 0x3fc2994e
	s_mov_b32 s10, 0x41317cef
	;; [unrolled: 1-line block ×4, first 2 shown]
	v_div_scale_f64 v[30:31], null, v[18:19], v[18:19], s[6:7]
	v_rcp_f64_e32 v[34:35], v[30:31]
	v_fma_f64 v[66:67], -v[30:31], v[34:35], 1.0
	v_fma_f64 v[34:35], v[34:35], v[66:67], v[34:35]
	v_fma_f64 v[66:67], -v[30:31], v[34:35], 1.0
	v_fma_f64 v[34:35], v[34:35], v[66:67], v[34:35]
	v_div_scale_f64 v[66:67], vcc_lo, s[6:7], v[18:19], s[6:7]
	v_mul_f64 v[68:69], v[66:67], v[34:35]
	v_fma_f64 v[30:31], -v[30:31], v[68:69], v[66:67]
	v_div_fmas_f64 v[30:31], v[30:31], v[34:35], v[68:69]
	v_div_fixup_f64 v[18:19], v[30:31], v[18:19], s[6:7]
	s_mov_b32 s7, 0xbff56cf1
	s_mov_b32 s6, 0x472aa3dd
	v_add_f64 v[30:31], v[14:15], s[6:7]
	s_mov_b32 s7, 0x3ff56cf1
	v_div_scale_f64 v[34:35], null, v[30:31], v[30:31], s[6:7]
	v_rcp_f64_e32 v[66:67], v[34:35]
	v_fma_f64 v[68:69], -v[34:35], v[66:67], 1.0
	v_fma_f64 v[66:67], v[66:67], v[68:69], v[66:67]
	v_fma_f64 v[68:69], -v[34:35], v[66:67], 1.0
	v_fma_f64 v[66:67], v[66:67], v[68:69], v[66:67]
	v_div_scale_f64 v[68:69], vcc_lo, s[6:7], v[30:31], s[6:7]
	v_mul_f64 v[70:71], v[68:69], v[66:67]
	v_fma_f64 v[34:35], -v[34:35], v[70:71], v[68:69]
	v_div_fmas_f64 v[34:35], v[34:35], v[66:67], v[70:71]
	v_div_fixup_f64 v[30:31], v[34:35], v[30:31], s[6:7]
	s_mov_b32 s7, 0xc00f6a6b
	s_mov_b32 s6, 0xd7175b27
	v_add_f64 v[34:35], v[14:15], s[6:7]
	s_mov_b32 s7, 0x400f6a6b
	;; [unrolled: 15-line block ×3, first 2 shown]
	v_div_scale_f64 v[66:67], null, v[14:15], v[14:15], s[6:7]
	v_rcp_f64_e32 v[68:69], v[66:67]
	v_fma_f64 v[70:71], -v[66:67], v[68:69], 1.0
	v_fma_f64 v[68:69], v[68:69], v[70:71], v[68:69]
	v_fma_f64 v[70:71], -v[66:67], v[68:69], 1.0
	v_fma_f64 v[68:69], v[68:69], v[70:71], v[68:69]
	v_div_scale_f64 v[70:71], vcc_lo, s[6:7], v[14:15], s[6:7]
	v_mul_f64 v[80:81], v[70:71], v[68:69]
	v_fma_f64 v[66:67], -v[66:67], v[80:81], v[70:71]
	v_mul_f64 v[70:71], v[82:83], s[8:9]
	s_mov_b32 s9, 0xbf93bba1
	v_div_fmas_f64 v[66:67], v[66:67], v[68:69], v[80:81]
	v_mul_f64 v[80:81], v[82:83], s[10:11]
	s_mov_b32 s11, 0xbfce036f
	v_div_fixup_f64 v[66:67], v[66:67], v[14:15], s[6:7]
	v_fma_f64 v[14:15], v[82:83], s[10:11], v[82:83]
	s_mov_b32 s7, 0x3f2d856f
	s_mov_b32 s6, 0x999f3b2
	v_mul_f64 v[68:69], v[82:83], s[6:7]
	s_mov_b32 s7, 0xbf2d856f
	v_fma_f64 v[14:15], v[82:83], s[8:9], v[14:15]
	v_fma_f64 v[84:85], v[82:83], s[6:7], v[14:15]
.LBB0_72:
	s_or_b32 exec_lo, exec_lo, s4
.LBB0_73:
	s_or_b32 exec_lo, exec_lo, s88
.LBB0_74:
	s_or_b32 exec_lo, exec_lo, s79
.LBB0_75:
	s_or_b32 exec_lo, exec_lo, s78
.LBB0_76:
	s_or_b32 exec_lo, exec_lo, s77
.LBB0_77:
	s_or_b32 exec_lo, exec_lo, s76
.LBB0_78:
	s_or_b32 exec_lo, exec_lo, s75
.LBB0_79:
	s_or_b32 exec_lo, exec_lo, s74
	buffer_store_dword v19, off, s[0:3], s33 offset:180
	buffer_store_dword v18, off, s[0:3], s33 offset:176
	;; [unrolled: 1-line block ×16, first 2 shown]
.LBB0_80:
	s_or_b32 exec_lo, exec_lo, s73
.LBB0_81:
	s_or_b32 exec_lo, exec_lo, s72
                                        ; implicit-def: $vgpr14_vgpr15
.LBB0_82:
	s_andn2_saveexec_b32 s14, vcc_hi
	s_cbranch_execz .LBB0_221
; %bb.83:
	s_mov_b32 s4, 0xf40d8376
	s_mov_b32 s5, 0x3e9421f5
                                        ; implicit-def: $vgpr68_vgpr69
                                        ; implicit-def: $vgpr70_vgpr71
                                        ; implicit-def: $vgpr30_vgpr31
                                        ; implicit-def: $vgpr66_vgpr67
                                        ; implicit-def: $vgpr34_vgpr35
                                        ; implicit-def: $vgpr18_vgpr19
	v_cmp_ngt_f64_e32 vcc_lo, s[4:5], v[14:15]
	s_and_saveexec_b32 s4, vcc_lo
	s_xor_b32 s15, exec_lo, s4
	s_cbranch_execz .LBB0_202
; %bb.84:
                                        ; implicit-def: $vgpr68_vgpr69
                                        ; implicit-def: $vgpr70_vgpr71
                                        ; implicit-def: $vgpr30_vgpr31
                                        ; implicit-def: $vgpr66_vgpr67
                                        ; implicit-def: $vgpr34_vgpr35
                                        ; implicit-def: $vgpr18_vgpr19
	s_mov_b32 s4, exec_lo
	v_cmpx_ngt_f64_e32 1.0, v[14:15]
	s_xor_b32 s16, exec_lo, s4
	s_cbranch_execz .LBB0_188
; %bb.85:
                                        ; implicit-def: $vgpr68_vgpr69
                                        ; implicit-def: $vgpr70_vgpr71
                                        ; implicit-def: $vgpr30_vgpr31
                                        ; implicit-def: $vgpr66_vgpr67
                                        ; implicit-def: $vgpr34_vgpr35
                                        ; implicit-def: $vgpr18_vgpr19
	s_mov_b32 s4, exec_lo
	v_cmpx_ngt_f64_e32 0x40080000, v[14:15]
	s_xor_b32 s17, exec_lo, s4
	s_cbranch_execz .LBB0_174
; %bb.86:
                                        ; implicit-def: $vgpr68_vgpr69
                                        ; implicit-def: $vgpr70_vgpr71
                                        ; implicit-def: $vgpr30_vgpr31
                                        ; implicit-def: $vgpr66_vgpr67
                                        ; implicit-def: $vgpr34_vgpr35
                                        ; implicit-def: $vgpr18_vgpr19
	s_mov_b32 s4, exec_lo
	v_cmpx_ngt_f64_e32 0x40140000, v[14:15]
	;; [unrolled: 11-line block ×5, first 2 shown]
	s_xor_b32 s8, exec_lo, s4
	s_cbranch_execz .LBB0_111
; %bb.90:
	s_mov_b32 s4, 0x54442d15
	s_mov_b32 s5, 0x3fe921fb
                                        ; implicit-def: $vgpr68_vgpr69
                                        ; implicit-def: $vgpr70_vgpr71
	v_div_scale_f64 v[18:19], null, v[14:15], v[14:15], s[4:5]
	v_div_scale_f64 v[66:67], vcc_lo, s[4:5], v[14:15], s[4:5]
	v_rcp_f64_e32 v[30:31], v[18:19]
	v_fma_f64 v[34:35], -v[18:19], v[30:31], 1.0
	v_fma_f64 v[30:31], v[30:31], v[34:35], v[30:31]
	v_fma_f64 v[34:35], -v[18:19], v[30:31], 1.0
	v_fma_f64 v[30:31], v[30:31], v[34:35], v[30:31]
	v_mul_f64 v[34:35], v[66:67], v[30:31]
	v_fma_f64 v[18:19], -v[18:19], v[34:35], v[66:67]
	v_div_fmas_f64 v[18:19], v[18:19], v[30:31], v[34:35]
	v_div_fixup_f64 v[18:19], v[18:19], v[14:15], s[4:5]
	v_cmp_gt_f64_e32 vcc_lo, 0x10000000, v[18:19]
	v_cndmask_b32_e64 v30, 0, 0x100, vcc_lo
	v_ldexp_f64 v[18:19], v[18:19], v30
	v_rsq_f64_e32 v[30:31], v[18:19]
	v_mul_f64 v[34:35], v[18:19], v[30:31]
	v_mul_f64 v[30:31], v[30:31], 0.5
	v_fma_f64 v[66:67], -v[30:31], v[34:35], 0.5
	v_fma_f64 v[34:35], v[34:35], v[66:67], v[34:35]
	v_fma_f64 v[30:31], v[30:31], v[66:67], v[30:31]
	v_fma_f64 v[66:67], -v[34:35], v[34:35], v[18:19]
	v_fma_f64 v[34:35], v[66:67], v[30:31], v[34:35]
	v_fma_f64 v[66:67], -v[34:35], v[34:35], v[18:19]
	v_fma_f64 v[30:31], v[66:67], v[30:31], v[34:35]
	v_cndmask_b32_e64 v34, 0, 0xffffff80, vcc_lo
	v_cmp_class_f64_e64 vcc_lo, v[18:19], 0x260
                                        ; implicit-def: $vgpr66_vgpr67
	v_ldexp_f64 v[30:31], v[30:31], v34
                                        ; implicit-def: $vgpr34_vgpr35
	v_cndmask_b32_e32 v30, v30, v18, vcc_lo
	buffer_load_dword v18, off, s[0:3], s33 offset:720 ; 4-byte Folded Reload
	v_cndmask_b32_e32 v31, v31, v19, vcc_lo
	s_waitcnt vmcnt(0)
	v_cmp_lt_i32_e32 vcc_lo, 0, v18
                                        ; implicit-def: $vgpr18_vgpr19
	s_and_saveexec_b32 s4, vcc_lo
	s_xor_b32 s9, exec_lo, s4
	s_cbranch_execz .LBB0_106
; %bb.91:
	buffer_load_dword v18, off, s[0:3], s33 offset:720 ; 4-byte Folded Reload
                                        ; implicit-def: $vgpr68_vgpr69
                                        ; implicit-def: $vgpr70_vgpr71
                                        ; implicit-def: $vgpr66_vgpr67
                                        ; implicit-def: $vgpr34_vgpr35
	s_waitcnt vmcnt(0)
	v_cmp_lt_i32_e32 vcc_lo, 1, v18
                                        ; implicit-def: $vgpr18_vgpr19
	s_and_saveexec_b32 s4, vcc_lo
	s_xor_b32 s10, exec_lo, s4
	s_cbranch_execz .LBB0_99
; %bb.92:
	buffer_load_dword v80, off, s[0:3], s33 offset:720 ; 4-byte Folded Reload
	v_mov_b32_e32 v68, 0
	v_mov_b32_e32 v70, 0
	;; [unrolled: 1-line block ×10, first 2 shown]
	s_mov_b32 s11, exec_lo
	s_waitcnt vmcnt(0)
	v_cmpx_eq_u32_e32 2, v80
	s_cbranch_execz .LBB0_98
; %bb.93:
                                        ; implicit-def: $vgpr68_vgpr69
                                        ; implicit-def: $vgpr70_vgpr71
                                        ; implicit-def: $vgpr66_vgpr67
                                        ; implicit-def: $vgpr34_vgpr35
                                        ; implicit-def: $vgpr18_vgpr19
	s_mov_b32 s4, exec_lo
	v_cmpx_ngt_f64_e32 0x40478000, v[14:15]
	s_xor_b32 s12, exec_lo, s4
	s_cbranch_execz .LBB0_95
; %bb.94:
	s_mov_b32 s7, 0xbfc85747
	s_mov_b32 s6, 0x227076b0
	;; [unrolled: 1-line block ×3, first 2 shown]
	v_add_f64 v[18:19], v[14:15], s[6:7]
	s_mov_b32 s22, 0x44af141d
	s_mov_b32 s25, 0xc01619f3
	v_add_f64 v[34:35], v[14:15], s[22:23]
	s_mov_b32 s24, 0xb5c0b740
	s_mov_b32 s7, 0x3fc85747
	;; [unrolled: 3-line block ×3, first 2 shown]
	s_mov_b32 s27, 0x3fc6af85
	s_mov_b32 s26, 0x8329214a
	v_div_scale_f64 v[66:67], null, v[18:19], v[18:19], s[6:7]
	v_div_scale_f64 v[115:116], vcc_lo, s[6:7], v[18:19], s[6:7]
	v_div_scale_f64 v[68:69], null, v[34:35], v[34:35], s[22:23]
	v_div_scale_f64 v[70:71], null, v[14:15], v[14:15], s[24:25]
	v_rcp_f64_e32 v[80:81], v[66:67]
	v_rcp_f64_e32 v[82:83], v[68:69]
	;; [unrolled: 1-line block ×3, first 2 shown]
	v_fma_f64 v[86:87], -v[66:67], v[80:81], 1.0
	v_fma_f64 v[96:97], -v[68:69], v[82:83], 1.0
	;; [unrolled: 1-line block ×3, first 2 shown]
	v_fma_f64 v[80:81], v[80:81], v[86:87], v[80:81]
	v_fma_f64 v[82:83], v[82:83], v[96:97], v[82:83]
	;; [unrolled: 1-line block ×3, first 2 shown]
	v_fma_f64 v[86:87], -v[66:67], v[80:81], 1.0
	v_fma_f64 v[96:97], -v[68:69], v[82:83], 1.0
	;; [unrolled: 1-line block ×3, first 2 shown]
	v_fma_f64 v[80:81], v[80:81], v[86:87], v[80:81]
	v_div_scale_f64 v[86:87], s4, s[22:23], v[34:35], s[22:23]
	v_fma_f64 v[82:83], v[82:83], v[96:97], v[82:83]
	v_div_scale_f64 v[96:97], s5, s[24:25], v[14:15], s[24:25]
	v_fma_f64 v[84:85], v[84:85], v[113:114], v[84:85]
	v_mul_f64 v[113:114], v[115:116], v[80:81]
	v_mul_f64 v[117:118], v[86:87], v[82:83]
	;; [unrolled: 1-line block ×3, first 2 shown]
	v_fma_f64 v[66:67], -v[66:67], v[113:114], v[115:116]
	v_fma_f64 v[68:69], -v[68:69], v[117:118], v[86:87]
	;; [unrolled: 1-line block ×3, first 2 shown]
	v_mul_f64 v[70:71], v[30:31], s[26:27]
	s_mov_b32 s27, 0xbfc6af85
	v_div_fmas_f64 v[66:67], v[66:67], v[80:81], v[113:114]
	s_mov_b32 vcc_lo, s4
	s_mov_b32 s4, 0x4d84c79e
	v_div_fmas_f64 v[80:81], v[68:69], v[82:83], v[117:118]
	s_mov_b32 vcc_lo, s5
	s_mov_b32 s5, 0x3f74efde
	v_div_fmas_f64 v[82:83], v[86:87], v[84:85], v[56:57]
	v_fma_f64 v[84:85], v[30:31], s[26:27], v[30:31]
	v_mul_f64 v[68:69], v[30:31], s[4:5]
	s_mov_b32 s5, 0xbf74efde
	v_div_fixup_f64 v[18:19], v[66:67], v[18:19], s[6:7]
	v_div_fixup_f64 v[34:35], v[80:81], v[34:35], s[22:23]
	v_div_fixup_f64 v[66:67], v[82:83], v[14:15], s[24:25]
	v_fma_f64 v[30:31], v[30:31], s[4:5], v[84:85]
                                        ; implicit-def: $vgpr14_vgpr15
.LBB0_95:
	s_andn2_saveexec_b32 s4, s12
	s_cbranch_execz .LBB0_97
; %bb.96:
	s_mov_b32 s6, 0x652b82fe
	s_mov_b32 s7, 0xbff71547
	;; [unrolled: 1-line block ×3, first 2 shown]
	v_mul_f64 v[18:19], v[14:15], s[6:7]
	s_mov_b32 s6, 0xfefa39ef
	s_mov_b32 s7, 0xbfe62e42
	;; [unrolled: 1-line block ×3, first 2 shown]
	v_rndne_f64_e32 v[18:19], v[18:19]
	v_fma_f64 v[34:35], v[18:19], s[6:7], -v[14:15]
	s_mov_b32 s6, 0x3b39803f
	s_mov_b32 s7, 0xbc7abc9e
	v_fma_f64 v[34:35], v[18:19], s[6:7], v[34:35]
	s_mov_b32 s6, 0xfca7ab0c
	s_mov_b32 s7, 0x3e928af3
	v_cvt_i32_f64_e32 v18, v[18:19]
	v_fma_f64 v[66:67], v[34:35], s[12:13], s[6:7]
	s_mov_b32 s6, 0x623fde64
	s_mov_b32 s7, 0x3ec71dee
	;; [unrolled: 1-line block ×4, first 2 shown]
	v_fma_f64 v[66:67], v[34:35], v[66:67], s[6:7]
	s_mov_b32 s6, 0x7c89e6b0
	s_mov_b32 s7, 0x3efa0199
	v_fma_f64 v[66:67], v[34:35], v[66:67], s[6:7]
	s_mov_b32 s6, 0x14761f6e
	s_mov_b32 s7, 0x3f2a01a0
	;; [unrolled: 3-line block ×8, first 2 shown]
	v_fma_f64 v[66:67], v[34:35], v[66:67], 1.0
	v_fma_f64 v[34:35], v[34:35], v[66:67], 1.0
	v_ldexp_f64 v[70:71], v[34:35], v18
	v_fma_f64 v[18:19], v[14:15], s[12:13], s[6:7]
	s_mov_b32 s6, 0x86a45708
	s_mov_b32 s7, 0xc0af34ac
	s_mov_b32 s12, 0x13f8e283
	s_mov_b32 s13, 0xc05277d9
	v_fma_f64 v[18:19], v[14:15], v[18:19], s[6:7]
	s_mov_b32 s7, 0xbfc85747
	s_mov_b32 s6, 0x227076b0
	v_add_f64 v[34:35], v[14:15], s[6:7]
	s_mov_b32 s7, 0x3fc85747
	v_div_scale_f64 v[66:67], null, v[34:35], v[34:35], s[6:7]
	v_rcp_f64_e32 v[68:69], v[66:67]
	v_fma_f64 v[80:81], -v[66:67], v[68:69], 1.0
	v_fma_f64 v[68:69], v[68:69], v[80:81], v[68:69]
	v_fma_f64 v[80:81], -v[66:67], v[68:69], 1.0
	v_fma_f64 v[68:69], v[68:69], v[80:81], v[68:69]
	v_div_scale_f64 v[80:81], vcc_lo, s[6:7], v[34:35], s[6:7]
	v_mul_f64 v[82:83], v[80:81], v[68:69]
	v_fma_f64 v[66:67], -v[66:67], v[82:83], v[80:81]
	v_div_fmas_f64 v[66:67], v[66:67], v[68:69], v[82:83]
	v_div_fixup_f64 v[34:35], v[66:67], v[34:35], s[6:7]
	s_mov_b32 s6, 0x3a45ec1c
	s_mov_b32 s7, 0x40a87f66
	v_fma_f64 v[18:19], v[18:19], v[70:71], v[34:35]
	v_fma_f64 v[34:35], v[14:15], s[12:13], s[6:7]
	s_mov_b32 s6, 0x2ce6c464
	s_mov_b32 s7, 0xc0e2e3c9
	s_mov_b32 s12, 0x50eddf20
	s_mov_b32 s13, 0xc0707c02
	v_fma_f64 v[34:35], v[14:15], v[34:35], s[6:7]
	s_mov_b32 s7, 0xbffc8d48
	s_mov_b32 s6, 0x44af141d
	v_add_f64 v[66:67], v[14:15], s[6:7]
	s_mov_b32 s7, 0x3ffc8d48
	v_div_scale_f64 v[68:69], null, v[66:67], v[66:67], s[6:7]
	v_rcp_f64_e32 v[80:81], v[68:69]
	v_fma_f64 v[82:83], -v[68:69], v[80:81], 1.0
	v_fma_f64 v[80:81], v[80:81], v[82:83], v[80:81]
	v_fma_f64 v[82:83], -v[68:69], v[80:81], 1.0
	v_fma_f64 v[80:81], v[80:81], v[82:83], v[80:81]
	v_div_scale_f64 v[82:83], vcc_lo, s[6:7], v[66:67], s[6:7]
	v_mul_f64 v[84:85], v[82:83], v[80:81]
	v_fma_f64 v[68:69], -v[68:69], v[84:85], v[82:83]
	v_div_fmas_f64 v[68:69], v[68:69], v[80:81], v[84:85]
	v_div_fixup_f64 v[66:67], v[68:69], v[66:67], s[6:7]
	s_mov_b32 s6, 0xc25f0059
	s_mov_b32 s7, 0x40c4649b
	v_fma_f64 v[34:35], v[34:35], v[70:71], v[66:67]
	;; [unrolled: 24-line block ×3, first 2 shown]
	v_fma_f64 v[68:69], v[14:15], s[12:13], s[6:7]
	s_mov_b32 s6, 0x993054c7
	s_mov_b32 s7, 0x40681f46
	;; [unrolled: 1-line block ×4, first 2 shown]
	v_fma_f64 v[68:69], v[14:15], v[68:69], s[6:7]
	s_mov_b32 s6, 0x5cbf58d1
	s_mov_b32 s7, 0xc09a3784
	v_fma_f64 v[68:69], v[14:15], v[68:69], s[6:7]
	s_mov_b32 s6, 0x4d84c79e
	s_mov_b32 s7, 0x3f74efde
	v_mul_f64 v[68:69], v[68:69], v[70:71]
	v_fma_f64 v[68:69], v[30:31], s[6:7], v[68:69]
	s_mov_b32 s6, 0xea39dc39
	s_mov_b32 s7, 0xc0a6cf9c
	v_fma_f64 v[80:81], v[14:15], s[12:13], s[6:7]
	s_mov_b32 s6, 0xc516d25b
	s_mov_b32 s7, 0x40e297ed
	;; [unrolled: 3-line block ×3, first 2 shown]
	v_mul_f64 v[14:15], v[14:15], v[70:71]
	v_fma_f64 v[70:71], v[30:31], s[6:7], v[14:15]
	v_add_f64 v[14:15], v[30:31], -v[70:71]
	v_add_f64 v[30:31], v[14:15], -v[68:69]
.LBB0_97:
	s_or_b32 exec_lo, exec_lo, s4
.LBB0_98:
	s_or_b32 exec_lo, exec_lo, s11
                                        ; implicit-def: $vgpr14_vgpr15
.LBB0_99:
	s_andn2_saveexec_b32 s5, s10
	s_cbranch_execz .LBB0_105
; %bb.100:
                                        ; implicit-def: $vgpr70_vgpr71
                                        ; implicit-def: $vgpr34_vgpr35
                                        ; implicit-def: $vgpr18_vgpr19
	s_mov_b32 s4, exec_lo
	v_cmpx_ngt_f64_e32 0x40440000, v[14:15]
	s_xor_b32 s6, exec_lo, s4
	s_cbranch_execz .LBB0_102
; %bb.101:
	s_mov_b32 s11, 0xbfd19dc7
	s_mov_b32 s10, 0xafdb7b47
	;; [unrolled: 1-line block ×3, first 2 shown]
	v_add_f64 v[18:19], v[14:15], s[10:11]
	s_mov_b32 s12, 0xa049083
	s_mov_b32 s11, 0x3fd19dc7
	v_add_f64 v[14:15], v[14:15], s[12:13]
	s_mov_b32 s13, 0x4005cc47
	s_mov_b32 s23, 0x3fb77d0a
	;; [unrolled: 1-line block ×3, first 2 shown]
	v_div_scale_f64 v[34:35], null, v[18:19], v[18:19], s[10:11]
	v_div_scale_f64 v[84:85], vcc_lo, s[10:11], v[18:19], s[10:11]
	v_div_scale_f64 v[66:67], null, v[14:15], v[14:15], s[12:13]
	v_rcp_f64_e32 v[68:69], v[34:35]
	v_rcp_f64_e32 v[70:71], v[66:67]
	v_fma_f64 v[80:81], -v[34:35], v[68:69], 1.0
	v_fma_f64 v[82:83], -v[66:67], v[70:71], 1.0
	v_fma_f64 v[68:69], v[68:69], v[80:81], v[68:69]
	v_fma_f64 v[70:71], v[70:71], v[82:83], v[70:71]
	v_fma_f64 v[80:81], -v[34:35], v[68:69], 1.0
	v_fma_f64 v[82:83], -v[66:67], v[70:71], 1.0
	v_fma_f64 v[68:69], v[68:69], v[80:81], v[68:69]
	v_div_scale_f64 v[80:81], s4, s[12:13], v[14:15], s[12:13]
	v_fma_f64 v[70:71], v[70:71], v[82:83], v[70:71]
	v_mul_f64 v[82:83], v[84:85], v[68:69]
	v_mul_f64 v[86:87], v[80:81], v[70:71]
	v_fma_f64 v[34:35], -v[34:35], v[82:83], v[84:85]
	v_fma_f64 v[66:67], -v[66:67], v[86:87], v[80:81]
	v_div_fmas_f64 v[34:35], v[34:35], v[68:69], v[82:83]
	s_mov_b32 vcc_lo, s4
	v_div_fmas_f64 v[66:67], v[66:67], v[70:71], v[86:87]
	v_mul_f64 v[70:71], v[30:31], s[22:23]
	s_mov_b32 s23, 0xbfb77d0a
	v_fma_f64 v[30:31], v[30:31], s[22:23], v[30:31]
	v_div_fixup_f64 v[18:19], v[34:35], v[18:19], s[10:11]
	v_div_fixup_f64 v[34:35], v[66:67], v[14:15], s[12:13]
                                        ; implicit-def: $vgpr14_vgpr15
.LBB0_102:
	s_andn2_saveexec_b32 s10, s6
	s_cbranch_execz .LBB0_104
; %bb.103:
	s_mov_b32 s6, 0x652b82fe
	s_mov_b32 s7, 0xbff71547
	;; [unrolled: 1-line block ×3, first 2 shown]
	v_mul_f64 v[18:19], v[14:15], s[6:7]
	s_mov_b32 s6, 0xfefa39ef
	s_mov_b32 s7, 0xbfe62e42
	;; [unrolled: 1-line block ×7, first 2 shown]
	v_rndne_f64_e32 v[18:19], v[18:19]
	v_fma_f64 v[34:35], v[18:19], s[6:7], -v[14:15]
	s_mov_b32 s6, 0x3b39803f
	s_mov_b32 s7, 0xbc7abc9e
	v_cvt_i32_f64_e32 v117, v[18:19]
	v_fma_f64 v[34:35], v[18:19], s[6:7], v[34:35]
	s_mov_b32 s6, 0xfca7ab0c
	s_mov_b32 s7, 0x3e928af3
	v_fma_f64 v[66:67], v[34:35], s[12:13], s[6:7]
	s_mov_b32 s6, 0x623fde64
	s_mov_b32 s7, 0x3ec71dee
	;; [unrolled: 1-line block ×4, first 2 shown]
	v_add_f64 v[70:71], v[14:15], s[12:13]
	s_mov_b32 s13, 0x4005cc47
	v_fma_f64 v[66:67], v[34:35], v[66:67], s[6:7]
	s_mov_b32 s6, 0x7c89e6b0
	s_mov_b32 s7, 0x3efa0199
	v_div_scale_f64 v[82:83], null, v[70:71], v[70:71], s[12:13]
	v_fma_f64 v[66:67], v[34:35], v[66:67], s[6:7]
	s_mov_b32 s7, 0xbfd19dc7
	s_mov_b32 s6, 0xafdb7b47
	v_add_f64 v[68:69], v[14:15], s[6:7]
	s_mov_b32 s7, 0x3fd19dc7
	v_rcp_f64_e32 v[86:87], v[82:83]
	v_fma_f64 v[66:67], v[34:35], v[66:67], s[22:23]
	s_mov_b32 s22, 0x1852b7b0
	s_mov_b32 s23, 0x3f56c16c
	v_div_scale_f64 v[80:81], null, v[68:69], v[68:69], s[6:7]
	v_div_scale_f64 v[115:116], vcc_lo, s[6:7], v[68:69], s[6:7]
	v_fma_f64 v[113:114], -v[82:83], v[86:87], 1.0
	v_fma_f64 v[66:67], v[34:35], v[66:67], s[22:23]
	s_mov_b32 s22, 0x11122322
	s_mov_b32 s23, 0x3f811111
	v_rcp_f64_e32 v[84:85], v[80:81]
	v_fma_f64 v[86:87], v[86:87], v[113:114], v[86:87]
	v_fma_f64 v[66:67], v[34:35], v[66:67], s[22:23]
	s_mov_b32 s22, 0x555502a1
	s_mov_b32 s23, 0x3fa55555
	v_fma_f64 v[96:97], -v[80:81], v[84:85], 1.0
	v_fma_f64 v[113:114], -v[82:83], v[86:87], 1.0
	v_fma_f64 v[66:67], v[34:35], v[66:67], s[22:23]
	s_mov_b32 s22, 0x55555511
	s_mov_b32 s23, 0x3fc55555
	v_fma_f64 v[84:85], v[84:85], v[96:97], v[84:85]
	v_fma_f64 v[86:87], v[86:87], v[113:114], v[86:87]
	;; [unrolled: 1-line block ×3, first 2 shown]
	s_mov_b32 s22, 11
	s_mov_b32 s23, 0x3fe00000
	v_fma_f64 v[96:97], -v[80:81], v[84:85], 1.0
	v_fma_f64 v[66:67], v[34:35], v[66:67], s[22:23]
	s_mov_b32 s22, 0x45480ba2
	s_mov_b32 s23, 0xc0537b34
	v_fma_f64 v[84:85], v[84:85], v[96:97], v[84:85]
	v_div_scale_f64 v[96:97], s4, s[12:13], v[70:71], s[12:13]
	v_fma_f64 v[66:67], v[34:35], v[66:67], 1.0
	v_mul_f64 v[113:114], v[115:116], v[84:85]
	v_mul_f64 v[18:19], v[96:97], v[86:87]
	v_fma_f64 v[34:35], v[34:35], v[66:67], 1.0
	v_fma_f64 v[66:67], -v[80:81], v[113:114], v[115:116]
	v_fma_f64 v[80:81], -v[82:83], v[18:19], v[96:97]
	v_fma_f64 v[82:83], v[14:15], s[24:25], s[22:23]
	s_mov_b32 s22, 0xe207c6a
	s_mov_b32 s24, 0x1a93ada1
	s_mov_b32 s23, 0x4025d947
	s_mov_b32 s25, 0xbfec2056
	v_ldexp_f64 v[34:35], v[34:35], v117
	v_div_fmas_f64 v[66:67], v[66:67], v[84:85], v[113:114]
	s_mov_b32 vcc_lo, s4
	v_div_fmas_f64 v[18:19], v[80:81], v[86:87], v[18:19]
	v_mul_f64 v[80:81], v[82:83], v[34:35]
	v_fma_f64 v[82:83], v[14:15], s[24:25], s[22:23]
	s_mov_b32 s22, 0x749a077d
	s_mov_b32 s24, 0xf39dd3e0
	;; [unrolled: 1-line block ×4, first 2 shown]
	v_div_fixup_f64 v[66:67], v[66:67], v[68:69], s[6:7]
	s_mov_b32 s6, 0x3fcf4f02
	s_mov_b32 s7, 0x3fb77d0a
	v_fma_f64 v[14:15], v[14:15], s[24:25], s[22:23]
	v_div_fixup_f64 v[68:69], v[18:19], v[70:71], s[12:13]
	v_fma_f64 v[70:71], v[30:31], s[6:7], v[80:81]
	v_fma_f64 v[18:19], v[82:83], v[34:35], v[66:67]
	v_fma_f64 v[34:35], v[14:15], v[34:35], v[68:69]
	v_add_f64 v[30:31], v[30:31], -v[70:71]
.LBB0_104:
	s_or_b32 exec_lo, exec_lo, s10
	v_mov_b32_e32 v68, 0
	v_mov_b32_e32 v66, 0
	;; [unrolled: 1-line block ×4, first 2 shown]
.LBB0_105:
	s_or_b32 exec_lo, exec_lo, s5
                                        ; implicit-def: $vgpr14_vgpr15
.LBB0_106:
	s_andn2_saveexec_b32 s4, s9
	s_cbranch_execz .LBB0_110
; %bb.107:
	buffer_load_dword v34, off, s[0:3], s33 offset:720 ; 4-byte Folded Reload
	v_mov_b32_e32 v68, 0
	v_mov_b32_e32 v18, 0
	;; [unrolled: 1-line block ×4, first 2 shown]
	s_mov_b32 s5, exec_lo
	s_waitcnt vmcnt(0)
	v_cmpx_eq_u32_e32 0, v34
	s_cbranch_execz .LBB0_109
; %bb.108:
	v_add_f64 v[14:15], v[14:15], -0.5
	v_div_scale_f64 v[18:19], null, v[14:15], v[14:15], 0.5
	v_rcp_f64_e32 v[34:35], v[18:19]
	v_fma_f64 v[66:67], -v[18:19], v[34:35], 1.0
	v_fma_f64 v[34:35], v[34:35], v[66:67], v[34:35]
	v_fma_f64 v[66:67], -v[18:19], v[34:35], 1.0
	v_fma_f64 v[34:35], v[34:35], v[66:67], v[34:35]
	v_div_scale_f64 v[66:67], vcc_lo, 0.5, v[14:15], 0.5
	v_mul_f64 v[70:71], v[66:67], v[34:35]
	v_fma_f64 v[18:19], -v[18:19], v[70:71], v[66:67]
	v_div_fmas_f64 v[18:19], v[18:19], v[34:35], v[70:71]
	v_div_fixup_f64 v[18:19], v[18:19], v[14:15], 0.5
.LBB0_109:
	s_or_b32 exec_lo, exec_lo, s5
	v_mov_b32_e32 v70, 0
	v_mov_b32_e32 v66, 0
	;; [unrolled: 1-line block ×6, first 2 shown]
.LBB0_110:
	s_or_b32 exec_lo, exec_lo, s4
                                        ; implicit-def: $vgpr14_vgpr15
.LBB0_111:
	s_andn2_saveexec_b32 s21, s8
	s_cbranch_execz .LBB0_129
; %bb.112:
	s_mov_b32 s4, 0xb4d0174d
	s_mov_b32 s5, 0x3fc91e26
	;; [unrolled: 1-line block ×3, first 2 shown]
	v_div_scale_f64 v[18:19], null, v[14:15], v[14:15], s[4:5]
	v_div_scale_f64 v[66:67], vcc_lo, s[4:5], v[14:15], s[4:5]
	s_mov_b32 s7, 0x3fe921fb
	s_mov_b32 s8, 0xfefa39ef
	;; [unrolled: 1-line block ×3, first 2 shown]
	v_rcp_f64_e32 v[30:31], v[18:19]
	v_fma_f64 v[34:35], -v[18:19], v[30:31], 1.0
	v_fma_f64 v[30:31], v[30:31], v[34:35], v[30:31]
	v_fma_f64 v[34:35], -v[18:19], v[30:31], 1.0
	v_fma_f64 v[30:31], v[30:31], v[34:35], v[30:31]
	v_mul_f64 v[34:35], v[66:67], v[30:31]
	v_fma_f64 v[18:19], -v[18:19], v[34:35], v[66:67]
	v_div_fmas_f64 v[18:19], v[18:19], v[30:31], v[34:35]
	v_div_scale_f64 v[34:35], null, v[14:15], v[14:15], s[6:7]
	v_div_fixup_f64 v[18:19], v[18:19], v[14:15], s[4:5]
	s_mov_b32 s4, 0x80245b5f
	s_mov_b32 s5, 0xbfdfce11
	v_rcp_f64_e32 v[68:69], v[34:35]
	v_add_f64 v[18:19], v[18:19], s[4:5]
	s_mov_b32 s4, 0x652b82fe
	s_mov_b32 s5, 0xbff71547
	v_mul_f64 v[82:83], v[14:15], s[4:5]
	v_fma_f64 v[80:81], -v[34:35], v[68:69], 1.0
	v_div_scale_f64 v[30:31], null, v[14:15], v[14:15], v[18:19]
	v_div_scale_f64 v[84:85], vcc_lo, v[18:19], v[14:15], v[18:19]
	v_fma_f64 v[68:69], v[68:69], v[80:81], v[68:69]
	v_rcp_f64_e32 v[66:67], v[30:31]
	v_fma_f64 v[80:81], -v[34:35], v[68:69], 1.0
	v_fma_f64 v[70:71], -v[30:31], v[66:67], 1.0
	v_fma_f64 v[68:69], v[68:69], v[80:81], v[68:69]
	v_rndne_f64_e32 v[80:81], v[82:83]
	v_fma_f64 v[66:67], v[66:67], v[70:71], v[66:67]
	v_fma_f64 v[96:97], v[80:81], s[8:9], -v[14:15]
	s_mov_b32 s8, 0x3b39803f
	s_mov_b32 s9, 0xbc7abc9e
	v_fma_f64 v[70:71], -v[30:31], v[66:67], 1.0
	v_fma_f64 v[66:67], v[66:67], v[70:71], v[66:67]
	v_div_scale_f64 v[70:71], s4, s[6:7], v[14:15], s[6:7]
	v_mul_f64 v[82:83], v[84:85], v[66:67]
	v_mul_f64 v[86:87], v[70:71], v[68:69]
	v_fma_f64 v[30:31], -v[30:31], v[82:83], v[84:85]
	v_fma_f64 v[34:35], -v[34:35], v[86:87], v[70:71]
	v_fma_f64 v[70:71], v[80:81], s[8:9], v[96:97]
	s_mov_b32 s8, 0x6a5dcb37
	s_mov_b32 s9, 0x3e5ade15
	v_cvt_i32_f64_e32 v80, v[80:81]
	v_div_fmas_f64 v[30:31], v[30:31], v[66:67], v[82:83]
	s_mov_b32 vcc_lo, s4
	s_mov_b32 s4, 0xfca7ab0c
	v_div_fmas_f64 v[34:35], v[34:35], v[68:69], v[86:87]
	s_mov_b32 s5, 0x3e928af3
	v_fma_f64 v[66:67], v[70:71], s[8:9], s[4:5]
	s_mov_b32 s4, 0x623fde64
	s_mov_b32 s5, 0x3ec71dee
	v_div_fixup_f64 v[18:19], v[30:31], v[14:15], v[18:19]
	v_div_fixup_f64 v[34:35], v[34:35], v[14:15], s[6:7]
	v_fma_f64 v[66:67], v[70:71], v[66:67], s[4:5]
	s_mov_b32 s4, 0x7c89e6b0
	s_mov_b32 s5, 0x3efa0199
	v_cmp_gt_f64_e32 vcc_lo, 0x10000000, v[34:35]
	v_fma_f64 v[66:67], v[70:71], v[66:67], s[4:5]
	s_mov_b32 s4, 0x14761f6e
	s_mov_b32 s5, 0x3f2a01a0
	v_cndmask_b32_e64 v68, 0, 0x100, vcc_lo
	v_cndmask_b32_e64 v30, 0, 0xffffff80, vcc_lo
	v_fma_f64 v[66:67], v[70:71], v[66:67], s[4:5]
	s_mov_b32 s4, 0x1852b7b0
	v_ldexp_f64 v[34:35], v[34:35], v68
	s_mov_b32 s5, 0x3f56c16c
	v_fma_f64 v[66:67], v[70:71], v[66:67], s[4:5]
	s_mov_b32 s4, 0x11122322
	v_rsq_f64_e32 v[68:69], v[34:35]
	s_mov_b32 s5, 0x3f811111
	v_cmp_class_f64_e64 vcc_lo, v[34:35], 0x260
	v_fma_f64 v[66:67], v[70:71], v[66:67], s[4:5]
	s_mov_b32 s4, 0x555502a1
	s_mov_b32 s5, 0x3fa55555
	v_mul_f64 v[82:83], v[34:35], v[68:69]
	v_mul_f64 v[68:69], v[68:69], 0.5
	v_fma_f64 v[66:67], v[70:71], v[66:67], s[4:5]
	s_mov_b32 s4, 0x55555511
	s_mov_b32 s5, 0x3fc55555
	v_fma_f64 v[84:85], -v[68:69], v[82:83], 0.5
	v_fma_f64 v[66:67], v[70:71], v[66:67], s[4:5]
	s_mov_b32 s4, 11
	s_mov_b32 s5, 0x3fe00000
	v_fma_f64 v[82:83], v[82:83], v[84:85], v[82:83]
	v_fma_f64 v[68:69], v[68:69], v[84:85], v[68:69]
	;; [unrolled: 1-line block ×3, first 2 shown]
	s_mov_b32 s4, 0x6403a8cf
	s_mov_b32 s5, 0xbf0f8a14
	v_add_f64 v[18:19], v[18:19], s[4:5]
	v_fma_f64 v[84:85], -v[82:83], v[82:83], v[34:35]
	v_fma_f64 v[66:67], v[70:71], v[66:67], 1.0
	v_fma_f64 v[82:83], v[84:85], v[68:69], v[82:83]
	v_fma_f64 v[66:67], v[70:71], v[66:67], 1.0
	v_fma_f64 v[84:85], -v[82:83], v[82:83], v[34:35]
	v_fma_f64 v[68:69], v[84:85], v[68:69], v[82:83]
	v_ldexp_f64 v[82:83], v[66:67], v80
	v_add_f64 v[84:85], v[14:15], v[14:15]
	v_ldexp_f64 v[30:31], v[68:69], v30
	v_cndmask_b32_e32 v31, v31, v35, vcc_lo
	v_cndmask_b32_e32 v30, v30, v34, vcc_lo
	v_fma_f64 v[30:31], v[18:19], v[82:83], v[30:31]
	v_add_f64 v[18:19], v[30:31], -v[82:83]
	v_div_scale_f64 v[34:35], null, v[84:85], v[84:85], v[18:19]
	v_rcp_f64_e32 v[66:67], v[34:35]
	v_fma_f64 v[68:69], -v[34:35], v[66:67], 1.0
	v_fma_f64 v[66:67], v[66:67], v[68:69], v[66:67]
	v_fma_f64 v[68:69], -v[34:35], v[66:67], 1.0
	v_fma_f64 v[66:67], v[66:67], v[68:69], v[66:67]
	v_div_scale_f64 v[68:69], vcc_lo, v[18:19], v[84:85], v[18:19]
	v_mul_f64 v[70:71], v[68:69], v[66:67]
	v_fma_f64 v[34:35], -v[34:35], v[70:71], v[68:69]
                                        ; implicit-def: $vgpr68_vgpr69
	v_div_fmas_f64 v[34:35], v[34:35], v[66:67], v[70:71]
                                        ; implicit-def: $vgpr70_vgpr71
                                        ; implicit-def: $vgpr66_vgpr67
	v_div_fixup_f64 v[80:81], v[34:35], v[84:85], v[18:19]
	buffer_load_dword v18, off, s[0:3], s33 offset:720 ; 4-byte Folded Reload
                                        ; implicit-def: $vgpr34_vgpr35
	s_waitcnt vmcnt(0)
	v_cmp_lt_i32_e32 vcc_lo, 0, v18
                                        ; implicit-def: $vgpr18_vgpr19
	s_and_saveexec_b32 s4, vcc_lo
	s_xor_b32 s22, exec_lo, s4
	s_cbranch_execz .LBB0_124
; %bb.113:
	buffer_load_dword v18, off, s[0:3], s33 offset:720 ; 4-byte Folded Reload
                                        ; implicit-def: $vgpr68_vgpr69
                                        ; implicit-def: $vgpr70_vgpr71
                                        ; implicit-def: $vgpr66_vgpr67
                                        ; implicit-def: $vgpr34_vgpr35
	s_waitcnt vmcnt(0)
	v_cmp_lt_i32_e32 vcc_lo, 1, v18
                                        ; implicit-def: $vgpr18_vgpr19
	s_and_saveexec_b32 s4, vcc_lo
	s_xor_b32 s23, exec_lo, s4
	s_cbranch_execz .LBB0_121
; %bb.114:
	buffer_load_dword v86, off, s[0:3], s33 offset:720 ; 4-byte Folded Reload
	v_mov_b32_e32 v68, 0
	v_mov_b32_e32 v70, 0
	;; [unrolled: 1-line block ×10, first 2 shown]
	s_mov_b32 s24, exec_lo
	s_waitcnt vmcnt(0)
	v_cmpx_eq_u32_e32 2, v86
	s_cbranch_execz .LBB0_120
; %bb.115:
                                        ; implicit-def: $vgpr34_vgpr35
                                        ; implicit-def: $vgpr18_vgpr19
                                        ; implicit-def: $vgpr66_vgpr67
	s_mov_b32 s4, exec_lo
	v_cmpx_ngt_f64_e32 0x40340000, v[14:15]
	s_xor_b32 s25, exec_lo, s4
	s_cbranch_execz .LBB0_117
; %bb.116:
	s_mov_b32 s4, 0xea14de2
	s_mov_b32 s5, 0xc084a2c2
	;; [unrolled: 1-line block ×3, first 2 shown]
	v_div_scale_f64 v[18:19], null, v[14:15], v[14:15], s[4:5]
	s_mov_b32 s8, 0x227076b0
	s_mov_b32 s6, 0x5c9c2ca2
	;; [unrolled: 1-line block ×13, first 2 shown]
	v_rcp_f64_e32 v[34:35], v[18:19]
	v_fma_f64 v[66:67], -v[18:19], v[34:35], 1.0
	v_fma_f64 v[34:35], v[34:35], v[66:67], v[34:35]
	v_fma_f64 v[66:67], -v[18:19], v[34:35], 1.0
	v_fma_f64 v[34:35], v[34:35], v[66:67], v[34:35]
	v_div_scale_f64 v[66:67], vcc_lo, s[4:5], v[14:15], s[4:5]
	v_mul_f64 v[68:69], v[66:67], v[34:35]
	v_fma_f64 v[18:19], -v[18:19], v[68:69], v[66:67]
	v_div_fmas_f64 v[18:19], v[18:19], v[34:35], v[68:69]
	v_add_f64 v[34:35], v[14:15], s[8:9]
	s_mov_b32 s9, 0x3fc85747
	v_div_fixup_f64 v[18:19], v[18:19], v[14:15], s[4:5]
	v_div_scale_f64 v[66:67], null, v[34:35], v[34:35], s[8:9]
	s_mov_b32 s4, 0x43d051e1
	s_mov_b32 s5, 0xbfe08e52
	v_rcp_f64_e32 v[68:69], v[66:67]
	v_fma_f64 v[70:71], -v[66:67], v[68:69], 1.0
	v_fma_f64 v[68:69], v[68:69], v[70:71], v[68:69]
	v_fma_f64 v[70:71], -v[66:67], v[68:69], 1.0
	v_fma_f64 v[68:69], v[68:69], v[70:71], v[68:69]
	v_div_scale_f64 v[70:71], vcc_lo, s[8:9], v[34:35], s[8:9]
	v_mul_f64 v[86:87], v[70:71], v[68:69]
	v_fma_f64 v[66:67], -v[66:67], v[86:87], v[70:71]
	v_div_fmas_f64 v[66:67], v[66:67], v[68:69], v[86:87]
	v_div_scale_f64 v[68:69], null, v[14:15], v[14:15], s[6:7]
	v_div_fixup_f64 v[34:35], v[66:67], v[34:35], s[8:9]
	v_rcp_f64_e32 v[70:71], v[68:69]
	s_mov_b32 s8, 0x71a9f002
	s_mov_b32 s9, 0xbf725bea
	v_fma_f64 v[86:87], -v[68:69], v[70:71], 1.0
	v_fma_f64 v[70:71], v[70:71], v[86:87], v[70:71]
	v_fma_f64 v[86:87], -v[68:69], v[70:71], 1.0
	v_fma_f64 v[70:71], v[70:71], v[86:87], v[70:71]
	v_div_scale_f64 v[86:87], vcc_lo, s[6:7], v[14:15], s[6:7]
	v_mul_f64 v[96:97], v[86:87], v[70:71]
	v_fma_f64 v[68:69], -v[68:69], v[96:97], v[86:87]
	v_div_fmas_f64 v[68:69], v[68:69], v[70:71], v[96:97]
	v_add_f64 v[70:71], v[14:15], s[12:13]
	s_mov_b32 s13, 0x3ffc8d48
	v_div_fixup_f64 v[68:69], v[68:69], v[14:15], s[6:7]
	v_div_scale_f64 v[86:87], null, v[70:71], v[70:71], s[12:13]
	s_mov_b32 s6, 0xf1a94fb7
	s_mov_b32 s7, 0xbf8c567f
	v_rcp_f64_e32 v[96:97], v[86:87]
	v_fma_f64 v[113:114], -v[86:87], v[96:97], 1.0
	v_fma_f64 v[96:97], v[96:97], v[113:114], v[96:97]
	v_fma_f64 v[113:114], -v[86:87], v[96:97], 1.0
	v_fma_f64 v[96:97], v[96:97], v[113:114], v[96:97]
	v_div_scale_f64 v[113:114], vcc_lo, s[12:13], v[70:71], s[12:13]
	v_mul_f64 v[115:116], v[113:114], v[96:97]
	v_fma_f64 v[86:87], -v[86:87], v[115:116], v[113:114]
	v_div_fmas_f64 v[86:87], v[86:87], v[96:97], v[115:116]
	v_div_scale_f64 v[96:97], null, v[14:15], v[14:15], s[10:11]
	v_div_fixup_f64 v[66:67], v[86:87], v[70:71], s[12:13]
	v_rcp_f64_e32 v[113:114], v[96:97]
	v_fma_f64 v[70:71], v[14:15], s[8:9], s[4:5]
	s_mov_b32 s12, 0x71f2e80a
	s_mov_b32 s13, 0x4026bcfb
	;; [unrolled: 1-line block ×6, first 2 shown]
	v_fma_f64 v[70:71], v[14:15], v[70:71], s[12:13]
	v_fma_f64 v[115:116], -v[96:97], v[113:114], 1.0
	v_fma_f64 v[70:71], v[14:15], v[70:71], s[4:5]
	v_fma_f64 v[113:114], v[113:114], v[115:116], v[113:114]
	s_mov_b32 s4, 0x5839f8b4
	s_mov_b32 s5, 0xbffc5df0
	v_fma_f64 v[68:69], v[14:15], v[70:71], v[68:69]
	v_fma_f64 v[115:116], -v[96:97], v[113:114], 1.0
	v_fma_f64 v[70:71], v[14:15], s[6:7], s[4:5]
	s_mov_b32 s4, 0x8a41e8b7
	s_mov_b32 s5, 0xc07659d7
	v_fma_f64 v[113:114], v[113:114], v[115:116], v[113:114]
	v_div_scale_f64 v[115:116], vcc_lo, s[10:11], v[14:15], s[10:11]
	v_fma_f64 v[70:71], v[14:15], v[70:71], s[8:9]
	v_mul_f64 v[117:118], v[115:116], v[113:114]
	v_fma_f64 v[70:71], v[14:15], v[70:71], s[4:5]
	s_mov_b32 s4, 0x8a43a1c2
	s_mov_b32 s5, 0x40649dce
	v_fma_f64 v[96:97], -v[96:97], v[117:118], v[115:116]
	v_div_fmas_f64 v[96:97], v[96:97], v[113:114], v[117:118]
	v_fma_f64 v[113:114], v[14:15], s[28:29], s[26:27]
	s_mov_b32 s26, 0x7dd2f38c
	s_mov_b32 s27, 0xc032d569
	v_div_fixup_f64 v[86:87], v[96:97], v[14:15], s[10:11]
	v_fma_f64 v[113:114], v[14:15], v[113:114], s[40:41]
	v_fma_f64 v[70:71], v[14:15], v[70:71], v[86:87]
	;; [unrolled: 1-line block ×4, first 2 shown]
	v_add_f64 v[18:19], v[18:19], s[4:5]
	s_mov_b32 s4, 0x32ede694
	s_mov_b32 s5, 0x4097c945
	v_fma_f64 v[18:19], v[18:19], v[82:83], v[34:35]
	v_add_f64 v[34:35], v[68:69], s[4:5]
	s_mov_b32 s4, 0xe32ed6f6
	s_mov_b32 s5, 0x40a514a2
	v_fma_f64 v[34:35], v[34:35], v[82:83], v[66:67]
	v_add_f64 v[66:67], v[70:71], s[4:5]
.LBB0_117:
	s_andn2_saveexec_b32 s4, s25
	s_cbranch_execz .LBB0_119
; %bb.118:
	s_mov_b32 s6, 0xcdc8f5a5
	s_mov_b32 s8, 0x6916718b
	;; [unrolled: 1-line block ×4, first 2 shown]
	v_fma_f64 v[18:19], v[14:15], s[8:9], s[6:7]
	s_mov_b32 s6, 0xd417330e
	s_mov_b32 s7, 0xbf97f91d
	;; [unrolled: 1-line block ×4, first 2 shown]
	v_fma_f64 v[18:19], v[14:15], v[18:19], s[6:7]
	s_mov_b32 s6, 0x4e35aec3
	s_mov_b32 s7, 0x3fe9016f
	v_fma_f64 v[18:19], v[14:15], v[18:19], s[6:7]
	s_mov_b32 s6, 0xeeb9b55a
	s_mov_b32 s7, 0xc0315227
	;; [unrolled: 3-line block ×4, first 2 shown]
	v_div_scale_f64 v[34:35], null, v[14:15], v[14:15], s[6:7]
	v_rcp_f64_e32 v[66:67], v[34:35]
	v_fma_f64 v[68:69], -v[34:35], v[66:67], 1.0
	v_fma_f64 v[66:67], v[66:67], v[68:69], v[66:67]
	v_fma_f64 v[68:69], -v[34:35], v[66:67], 1.0
	v_fma_f64 v[66:67], v[66:67], v[68:69], v[66:67]
	v_div_scale_f64 v[68:69], vcc_lo, s[6:7], v[14:15], s[6:7]
	v_mul_f64 v[70:71], v[68:69], v[66:67]
	v_fma_f64 v[34:35], -v[34:35], v[70:71], v[68:69]
	v_div_fmas_f64 v[34:35], v[34:35], v[66:67], v[70:71]
	v_div_fixup_f64 v[34:35], v[34:35], v[14:15], s[6:7]
	s_mov_b32 s6, 0xf1fad81f
	s_mov_b32 s7, 0x40c33034
	v_add_f64 v[34:35], v[34:35], s[6:7]
	s_mov_b32 s6, 0xebf84c5c
	s_mov_b32 s7, 0xc0a03f69
	v_div_scale_f64 v[66:67], null, v[14:15], v[14:15], v[34:35]
	v_rcp_f64_e32 v[68:69], v[66:67]
	v_fma_f64 v[70:71], -v[66:67], v[68:69], 1.0
	v_fma_f64 v[68:69], v[68:69], v[70:71], v[68:69]
	v_fma_f64 v[70:71], -v[66:67], v[68:69], 1.0
	v_fma_f64 v[68:69], v[68:69], v[70:71], v[68:69]
	v_div_scale_f64 v[70:71], vcc_lo, v[34:35], v[14:15], v[34:35]
	v_mul_f64 v[86:87], v[70:71], v[68:69]
	v_fma_f64 v[66:67], -v[66:67], v[86:87], v[70:71]
	v_div_fmas_f64 v[66:67], v[66:67], v[68:69], v[86:87]
	v_div_fixup_f64 v[34:35], v[66:67], v[14:15], v[34:35]
	v_fma_f64 v[18:19], v[14:15], v[18:19], v[34:35]
	v_add_f64 v[18:19], v[18:19], s[6:7]
	s_mov_b32 s7, 0xbfc85747
	s_mov_b32 s6, 0x227076b0
	v_add_f64 v[34:35], v[14:15], s[6:7]
	s_mov_b32 s7, 0x3fc85747
	v_div_scale_f64 v[66:67], null, v[34:35], v[34:35], s[6:7]
	v_rcp_f64_e32 v[68:69], v[66:67]
	v_fma_f64 v[70:71], -v[66:67], v[68:69], 1.0
	v_fma_f64 v[68:69], v[68:69], v[70:71], v[68:69]
	v_fma_f64 v[70:71], -v[66:67], v[68:69], 1.0
	v_fma_f64 v[68:69], v[68:69], v[70:71], v[68:69]
	v_div_scale_f64 v[70:71], vcc_lo, s[6:7], v[34:35], s[6:7]
	v_mul_f64 v[86:87], v[70:71], v[68:69]
	v_fma_f64 v[66:67], -v[66:67], v[86:87], v[70:71]
	v_div_fmas_f64 v[66:67], v[66:67], v[68:69], v[86:87]
	v_div_fixup_f64 v[34:35], v[66:67], v[34:35], s[6:7]
	s_mov_b32 s6, 0x3ff9717c
	s_mov_b32 s7, 0x3fa1e0e0
	v_fma_f64 v[18:19], v[18:19], v[82:83], v[34:35]
	v_fma_f64 v[34:35], v[14:15], s[8:9], s[6:7]
	s_mov_b32 s6, 0x3b61349
	s_mov_b32 s7, 0xc008bf3c
	;; [unrolled: 1-line block ×4, first 2 shown]
	v_fma_f64 v[34:35], v[14:15], v[34:35], s[6:7]
	s_mov_b32 s6, 0x84b0a871
	s_mov_b32 s7, 0x405ac260
	v_fma_f64 v[34:35], v[14:15], v[34:35], s[6:7]
	s_mov_b32 s6, 0x57bb853e
	s_mov_b32 s7, 0xc0a27d31
	;; [unrolled: 3-line block ×3, first 2 shown]
	v_div_scale_f64 v[66:67], null, v[14:15], v[14:15], s[6:7]
	v_rcp_f64_e32 v[68:69], v[66:67]
	v_fma_f64 v[70:71], -v[66:67], v[68:69], 1.0
	v_fma_f64 v[68:69], v[68:69], v[70:71], v[68:69]
	v_fma_f64 v[70:71], -v[66:67], v[68:69], 1.0
	v_fma_f64 v[68:69], v[68:69], v[70:71], v[68:69]
	v_div_scale_f64 v[70:71], vcc_lo, s[6:7], v[14:15], s[6:7]
	v_mul_f64 v[86:87], v[70:71], v[68:69]
	v_fma_f64 v[66:67], -v[66:67], v[86:87], v[70:71]
	v_div_fmas_f64 v[66:67], v[66:67], v[68:69], v[86:87]
	v_div_fixup_f64 v[66:67], v[66:67], v[14:15], s[6:7]
	s_mov_b32 s6, 0xd790047
	s_mov_b32 s7, 0x413588df
	v_add_f64 v[66:67], v[66:67], s[6:7]
	s_mov_b32 s6, 0x577bf3db
	s_mov_b32 s7, 0xc111cb31
	v_div_scale_f64 v[68:69], null, v[14:15], v[14:15], v[66:67]
	v_rcp_f64_e32 v[70:71], v[68:69]
	v_fma_f64 v[86:87], -v[68:69], v[70:71], 1.0
	v_fma_f64 v[70:71], v[70:71], v[86:87], v[70:71]
	v_fma_f64 v[86:87], -v[68:69], v[70:71], 1.0
	v_fma_f64 v[70:71], v[70:71], v[86:87], v[70:71]
	v_div_scale_f64 v[86:87], vcc_lo, v[66:67], v[14:15], v[66:67]
	v_mul_f64 v[96:97], v[86:87], v[70:71]
	v_fma_f64 v[68:69], -v[68:69], v[96:97], v[86:87]
	v_div_fmas_f64 v[68:69], v[68:69], v[70:71], v[96:97]
	v_div_fixup_f64 v[66:67], v[68:69], v[14:15], v[66:67]
	v_add_f64 v[66:67], v[66:67], s[6:7]
	s_mov_b32 s6, 0x316d409b
	s_mov_b32 s7, 0x40e05e09
	v_div_scale_f64 v[68:69], null, v[14:15], v[14:15], v[66:67]
	v_rcp_f64_e32 v[70:71], v[68:69]
	v_fma_f64 v[86:87], -v[68:69], v[70:71], 1.0
	v_fma_f64 v[70:71], v[70:71], v[86:87], v[70:71]
	v_fma_f64 v[86:87], -v[68:69], v[70:71], 1.0
	v_fma_f64 v[70:71], v[70:71], v[86:87], v[70:71]
	v_div_scale_f64 v[86:87], vcc_lo, v[66:67], v[14:15], v[66:67]
	v_mul_f64 v[96:97], v[86:87], v[70:71]
	v_fma_f64 v[68:69], -v[68:69], v[96:97], v[86:87]
	v_div_fmas_f64 v[68:69], v[68:69], v[70:71], v[96:97]
	v_div_fixup_f64 v[66:67], v[68:69], v[14:15], v[66:67]
	v_fma_f64 v[34:35], v[14:15], v[34:35], v[66:67]
	v_add_f64 v[34:35], v[34:35], s[6:7]
	s_mov_b32 s7, 0xbffc8d48
	s_mov_b32 s6, 0x44af141d
	v_add_f64 v[66:67], v[14:15], s[6:7]
	s_mov_b32 s7, 0x3ffc8d48
	v_div_scale_f64 v[68:69], null, v[66:67], v[66:67], s[6:7]
	v_rcp_f64_e32 v[70:71], v[68:69]
	v_fma_f64 v[86:87], -v[68:69], v[70:71], 1.0
	v_fma_f64 v[70:71], v[70:71], v[86:87], v[70:71]
	v_fma_f64 v[86:87], -v[68:69], v[70:71], 1.0
	v_fma_f64 v[70:71], v[70:71], v[86:87], v[70:71]
	v_div_scale_f64 v[86:87], vcc_lo, s[6:7], v[66:67], s[6:7]
	v_mul_f64 v[96:97], v[86:87], v[70:71]
	v_fma_f64 v[68:69], -v[68:69], v[96:97], v[86:87]
	v_div_fmas_f64 v[68:69], v[68:69], v[70:71], v[96:97]
	v_div_fixup_f64 v[66:67], v[68:69], v[66:67], s[6:7]
	s_mov_b32 s6, 0xb3b37cd8
	s_mov_b32 s7, 0xbf9d644d
	v_fma_f64 v[34:35], v[34:35], v[82:83], v[66:67]
	v_fma_f64 v[66:67], v[14:15], s[8:9], s[6:7]
	s_mov_b32 s6, 0x58db5abf
	s_mov_b32 s7, 0xbfe91276
	v_fma_f64 v[66:67], v[14:15], v[66:67], s[6:7]
	s_mov_b32 s6, 0x6458880d
	s_mov_b32 s7, 0xc0326f13
	;; [unrolled: 3-line block ×4, first 2 shown]
	v_div_scale_f64 v[68:69], null, v[14:15], v[14:15], s[6:7]
	v_rcp_f64_e32 v[70:71], v[68:69]
	v_fma_f64 v[86:87], -v[68:69], v[70:71], 1.0
	v_fma_f64 v[70:71], v[70:71], v[86:87], v[70:71]
	v_fma_f64 v[86:87], -v[68:69], v[70:71], 1.0
	v_fma_f64 v[70:71], v[70:71], v[86:87], v[70:71]
	v_div_scale_f64 v[86:87], vcc_lo, s[6:7], v[14:15], s[6:7]
	v_mul_f64 v[96:97], v[86:87], v[70:71]
	v_fma_f64 v[68:69], -v[68:69], v[96:97], v[86:87]
	v_div_fmas_f64 v[68:69], v[68:69], v[70:71], v[96:97]
	v_div_fixup_f64 v[68:69], v[68:69], v[14:15], s[6:7]
	s_mov_b32 s6, 0xd9c89bfe
	s_mov_b32 s7, 0x40e8f9ba
	v_add_f64 v[68:69], v[68:69], s[6:7]
	s_mov_b32 s6, 0x4dc4ad02
	s_mov_b32 s7, 0xc0bae175
	v_div_scale_f64 v[70:71], null, v[14:15], v[14:15], v[68:69]
	v_rcp_f64_e32 v[86:87], v[70:71]
	v_fma_f64 v[96:97], -v[70:71], v[86:87], 1.0
	v_fma_f64 v[86:87], v[86:87], v[96:97], v[86:87]
	v_fma_f64 v[96:97], -v[70:71], v[86:87], 1.0
	v_fma_f64 v[86:87], v[86:87], v[96:97], v[86:87]
	v_div_scale_f64 v[96:97], vcc_lo, v[68:69], v[14:15], v[68:69]
	v_mul_f64 v[113:114], v[96:97], v[86:87]
	v_fma_f64 v[70:71], -v[70:71], v[113:114], v[96:97]
	v_div_fmas_f64 v[70:71], v[70:71], v[86:87], v[113:114]
	v_div_fixup_f64 v[68:69], v[70:71], v[14:15], v[68:69]
	v_fma_f64 v[66:67], v[14:15], v[66:67], v[68:69]
	v_add_f64 v[66:67], v[66:67], s[6:7]
.LBB0_119:
	s_or_b32 exec_lo, exec_lo, s4
	v_fma_f64 v[68:69], v[80:81], 2.0, v[80:81]
	s_mov_b32 s5, 0xc01619f3
	s_mov_b32 s4, 0xb5c0b740
	v_add_f64 v[14:15], v[14:15], s[4:5]
	s_mov_b32 s5, 0x401619f3
	v_add_f64 v[68:69], v[68:69], -v[82:83]
	v_div_scale_f64 v[70:71], null, v[84:85], v[84:85], v[68:69]
	v_rcp_f64_e32 v[86:87], v[70:71]
	v_fma_f64 v[96:97], -v[70:71], v[86:87], 1.0
	v_fma_f64 v[86:87], v[86:87], v[96:97], v[86:87]
	v_fma_f64 v[96:97], -v[70:71], v[86:87], 1.0
	v_fma_f64 v[86:87], v[86:87], v[96:97], v[86:87]
	v_div_scale_f64 v[96:97], vcc_lo, v[68:69], v[84:85], v[68:69]
	v_mul_f64 v[113:114], v[96:97], v[86:87]
	v_fma_f64 v[70:71], -v[70:71], v[113:114], v[96:97]
	v_div_fmas_f64 v[70:71], v[70:71], v[86:87], v[113:114]
	v_div_fixup_f64 v[68:69], v[70:71], v[84:85], v[68:69]
	v_div_scale_f64 v[70:71], null, v[14:15], v[14:15], s[4:5]
	v_rcp_f64_e32 v[84:85], v[70:71]
	v_fma_f64 v[86:87], -v[70:71], v[84:85], 1.0
	v_fma_f64 v[84:85], v[84:85], v[86:87], v[84:85]
	v_fma_f64 v[86:87], -v[70:71], v[84:85], 1.0
	v_fma_f64 v[84:85], v[84:85], v[86:87], v[84:85]
	v_div_scale_f64 v[86:87], vcc_lo, s[4:5], v[14:15], s[4:5]
	v_mul_f64 v[96:97], v[86:87], v[84:85]
	v_fma_f64 v[70:71], -v[70:71], v[96:97], v[86:87]
	v_div_fmas_f64 v[70:71], v[70:71], v[84:85], v[96:97]
	v_div_fixup_f64 v[14:15], v[70:71], v[14:15], s[4:5]
	v_fma_f64 v[66:67], v[82:83], v[66:67], v[14:15]
	v_add_f64 v[14:15], v[18:19], 1.0
	v_div_scale_f64 v[70:71], null, v[14:15], v[14:15], v[18:19]
	v_rcp_f64_e32 v[82:83], v[70:71]
	v_fma_f64 v[84:85], -v[70:71], v[82:83], 1.0
	v_fma_f64 v[82:83], v[82:83], v[84:85], v[82:83]
	v_fma_f64 v[84:85], -v[70:71], v[82:83], 1.0
	v_fma_f64 v[82:83], v[82:83], v[84:85], v[82:83]
	v_div_scale_f64 v[84:85], vcc_lo, v[18:19], v[14:15], v[18:19]
	v_mul_f64 v[86:87], v[84:85], v[82:83]
	v_fma_f64 v[70:71], -v[70:71], v[86:87], v[84:85]
	v_div_fmas_f64 v[70:71], v[70:71], v[82:83], v[86:87]
	v_div_fixup_f64 v[14:15], v[70:71], v[14:15], v[18:19]
	v_add_f64 v[70:71], v[34:35], 1.0
	v_div_scale_f64 v[82:83], null, v[70:71], v[70:71], v[34:35]
	v_rcp_f64_e32 v[84:85], v[82:83]
	v_fma_f64 v[86:87], -v[82:83], v[84:85], 1.0
	v_fma_f64 v[84:85], v[84:85], v[86:87], v[84:85]
	v_fma_f64 v[86:87], -v[82:83], v[84:85], 1.0
	v_fma_f64 v[84:85], v[84:85], v[86:87], v[84:85]
	v_div_scale_f64 v[86:87], vcc_lo, v[34:35], v[70:71], v[34:35]
	v_mul_f64 v[96:97], v[86:87], v[84:85]
	v_fma_f64 v[82:83], -v[82:83], v[96:97], v[86:87]
	v_div_fmas_f64 v[82:83], v[82:83], v[84:85], v[96:97]
	v_div_fixup_f64 v[70:71], v[82:83], v[70:71], v[34:35]
	v_add_f64 v[82:83], v[66:67], 1.0
	v_div_scale_f64 v[84:85], null, v[82:83], v[82:83], v[66:67]
	v_rcp_f64_e32 v[86:87], v[84:85]
	v_fma_f64 v[96:97], -v[84:85], v[86:87], 1.0
	v_fma_f64 v[86:87], v[86:87], v[96:97], v[86:87]
	v_fma_f64 v[96:97], -v[84:85], v[86:87], 1.0
	v_fma_f64 v[86:87], v[86:87], v[96:97], v[86:87]
	v_div_scale_f64 v[96:97], vcc_lo, v[66:67], v[82:83], v[66:67]
	v_mul_f64 v[113:114], v[96:97], v[86:87]
	v_fma_f64 v[84:85], -v[84:85], v[113:114], v[96:97]
	v_div_fmas_f64 v[84:85], v[84:85], v[86:87], v[113:114]
	v_div_fixup_f64 v[82:83], v[84:85], v[82:83], v[66:67]
	v_fma_f64 v[84:85], -v[80:81], v[14:15], v[68:69]
	v_fma_f64 v[80:81], -v[30:31], v[14:15], v[80:81]
	v_add_f64 v[86:87], v[82:83], -v[70:71]
	v_add_f64 v[96:97], v[82:83], -v[14:15]
	v_fma_f64 v[68:69], -v[70:71], v[80:81], v[84:85]
	v_add_f64 v[14:15], v[70:71], -v[14:15]
	v_fma_f64 v[80:81], v[82:83], v[80:81], -v[84:85]
	v_mul_f64 v[96:97], v[86:87], v[96:97]
	v_mul_f64 v[14:15], v[14:15], v[86:87]
	v_div_scale_f64 v[113:114], null, v[96:97], v[96:97], v[68:69]
	v_div_scale_f64 v[70:71], null, v[14:15], v[14:15], v[80:81]
	v_rcp_f64_e32 v[115:116], v[113:114]
	v_rcp_f64_e32 v[82:83], v[70:71]
	v_fma_f64 v[117:118], -v[113:114], v[115:116], 1.0
	v_fma_f64 v[84:85], -v[70:71], v[82:83], 1.0
	v_fma_f64 v[115:116], v[115:116], v[117:118], v[115:116]
	v_fma_f64 v[82:83], v[82:83], v[84:85], v[82:83]
	v_fma_f64 v[117:118], -v[113:114], v[115:116], 1.0
	v_fma_f64 v[84:85], -v[70:71], v[82:83], 1.0
	v_fma_f64 v[115:116], v[115:116], v[117:118], v[115:116]
	v_div_scale_f64 v[117:118], vcc_lo, v[68:69], v[96:97], v[68:69]
	v_fma_f64 v[82:83], v[82:83], v[84:85], v[82:83]
	v_mul_f64 v[56:57], v[117:118], v[115:116]
	v_fma_f64 v[113:114], -v[113:114], v[56:57], v[117:118]
	v_div_fmas_f64 v[113:114], v[113:114], v[115:116], v[56:57]
	v_div_scale_f64 v[84:85], vcc_lo, v[80:81], v[14:15], v[80:81]
	v_div_fixup_f64 v[68:69], v[113:114], v[96:97], v[68:69]
	v_mul_f64 v[86:87], v[84:85], v[82:83]
	v_fma_f64 v[70:71], -v[70:71], v[86:87], v[84:85]
	v_div_fmas_f64 v[70:71], v[70:71], v[82:83], v[86:87]
	v_div_fixup_f64 v[70:71], v[70:71], v[14:15], v[80:81]
	v_add_f64 v[14:15], v[30:31], -v[70:71]
	v_add_f64 v[30:31], v[14:15], -v[68:69]
.LBB0_120:
	s_or_b32 exec_lo, exec_lo, s24
                                        ; implicit-def: $vgpr14_vgpr15
                                        ; implicit-def: $vgpr82_vgpr83
                                        ; implicit-def: $vgpr80_vgpr81
.LBB0_121:
	s_andn2_saveexec_b32 s4, s23
	s_cbranch_execz .LBB0_123
; %bb.122:
	s_mov_b32 s6, 0xc7014c2f
	s_mov_b32 s8, 0x2e1a6850
	;; [unrolled: 1-line block ×4, first 2 shown]
	v_fma_f64 v[18:19], v[14:15], s[8:9], s[6:7]
	s_mov_b32 s6, 0x3ecbb5b5
	s_mov_b32 s7, 0xbf919c75
	;; [unrolled: 1-line block ×4, first 2 shown]
	v_fma_f64 v[18:19], v[14:15], v[18:19], s[6:7]
	s_mov_b32 s6, 0x2c4d6e04
	s_mov_b32 s7, 0xbfc192ce
	v_fma_f64 v[18:19], v[14:15], v[18:19], s[6:7]
	s_mov_b32 s6, 0x98a19a3b
	s_mov_b32 s7, 0xc047c97f
	v_div_scale_f64 v[34:35], null, v[14:15], v[14:15], s[6:7]
	v_rcp_f64_e32 v[66:67], v[34:35]
	v_fma_f64 v[68:69], -v[34:35], v[66:67], 1.0
	v_fma_f64 v[66:67], v[66:67], v[68:69], v[66:67]
	v_fma_f64 v[68:69], -v[34:35], v[66:67], 1.0
	v_fma_f64 v[66:67], v[66:67], v[68:69], v[66:67]
	v_div_scale_f64 v[68:69], vcc_lo, s[6:7], v[14:15], s[6:7]
	v_mul_f64 v[70:71], v[68:69], v[66:67]
	v_fma_f64 v[34:35], -v[34:35], v[70:71], v[68:69]
	v_div_fmas_f64 v[34:35], v[34:35], v[66:67], v[70:71]
	v_div_fixup_f64 v[34:35], v[34:35], v[14:15], s[6:7]
	s_mov_b32 s6, 0xeb08f581
	s_mov_b32 s7, 0x40226b8b
	v_add_f64 v[34:35], v[34:35], s[6:7]
	s_mov_b32 s6, 0x7e7368c2
	s_mov_b32 s7, 0xbf97a9a5
	v_div_scale_f64 v[66:67], null, v[14:15], v[14:15], v[34:35]
	v_rcp_f64_e32 v[68:69], v[66:67]
	v_fma_f64 v[70:71], -v[66:67], v[68:69], 1.0
	v_fma_f64 v[68:69], v[68:69], v[70:71], v[68:69]
	v_fma_f64 v[70:71], -v[66:67], v[68:69], 1.0
	v_fma_f64 v[68:69], v[68:69], v[70:71], v[68:69]
	v_div_scale_f64 v[70:71], vcc_lo, v[34:35], v[14:15], v[34:35]
	v_mul_f64 v[84:85], v[70:71], v[68:69]
	v_fma_f64 v[66:67], -v[66:67], v[84:85], v[70:71]
	v_div_fmas_f64 v[66:67], v[66:67], v[68:69], v[84:85]
	v_div_fixup_f64 v[34:35], v[66:67], v[14:15], v[34:35]
	v_fma_f64 v[18:19], v[14:15], v[18:19], v[34:35]
	v_add_f64 v[18:19], v[18:19], s[6:7]
	s_mov_b32 s7, 0xbfd19dc7
	s_mov_b32 s6, 0xafdb7b47
	v_add_f64 v[34:35], v[14:15], s[6:7]
	s_mov_b32 s7, 0x3fd19dc7
	v_div_scale_f64 v[66:67], null, v[34:35], v[34:35], s[6:7]
	v_rcp_f64_e32 v[68:69], v[66:67]
	v_fma_f64 v[70:71], -v[66:67], v[68:69], 1.0
	v_fma_f64 v[68:69], v[68:69], v[70:71], v[68:69]
	v_fma_f64 v[70:71], -v[66:67], v[68:69], 1.0
	v_fma_f64 v[68:69], v[68:69], v[70:71], v[68:69]
	v_div_scale_f64 v[70:71], vcc_lo, s[6:7], v[34:35], s[6:7]
	v_mul_f64 v[84:85], v[70:71], v[68:69]
	v_fma_f64 v[66:67], -v[66:67], v[84:85], v[70:71]
	v_div_fmas_f64 v[66:67], v[66:67], v[68:69], v[84:85]
	v_div_fixup_f64 v[34:35], v[66:67], v[34:35], s[6:7]
	s_mov_b32 s6, 0x5eeb529d
	s_mov_b32 s7, 0xbfb8e11f
	v_fma_f64 v[18:19], v[18:19], v[82:83], v[34:35]
	v_fma_f64 v[34:35], v[14:15], s[8:9], s[6:7]
	s_mov_b32 s6, 0xef27b1df
	s_mov_b32 s7, 0xc0101d8d
	v_fma_f64 v[34:35], v[14:15], v[34:35], s[6:7]
	s_mov_b32 s6, 0x91cc54ee
	s_mov_b32 s7, 0xc060fa97
	v_div_scale_f64 v[66:67], null, v[14:15], v[14:15], s[6:7]
	v_rcp_f64_e32 v[68:69], v[66:67]
	v_fma_f64 v[70:71], -v[66:67], v[68:69], 1.0
	v_fma_f64 v[68:69], v[68:69], v[70:71], v[68:69]
	v_fma_f64 v[70:71], -v[66:67], v[68:69], 1.0
	v_fma_f64 v[68:69], v[68:69], v[70:71], v[68:69]
	v_div_scale_f64 v[70:71], vcc_lo, s[6:7], v[14:15], s[6:7]
	v_mul_f64 v[84:85], v[70:71], v[68:69]
	v_fma_f64 v[66:67], -v[66:67], v[84:85], v[70:71]
	v_div_fmas_f64 v[66:67], v[66:67], v[68:69], v[84:85]
	v_div_fixup_f64 v[66:67], v[66:67], v[14:15], s[6:7]
	s_mov_b32 s6, 0x66acbf03
	s_mov_b32 s7, 0xc055ac1b
	v_add_f64 v[66:67], v[66:67], s[6:7]
	s_mov_b32 s6, 0x5e33dc4b
	s_mov_b32 s7, 0x4007d745
	v_div_scale_f64 v[68:69], null, v[14:15], v[14:15], v[66:67]
	v_rcp_f64_e32 v[70:71], v[68:69]
	v_fma_f64 v[84:85], -v[68:69], v[70:71], 1.0
	v_fma_f64 v[70:71], v[70:71], v[84:85], v[70:71]
	v_fma_f64 v[84:85], -v[68:69], v[70:71], 1.0
	v_fma_f64 v[70:71], v[70:71], v[84:85], v[70:71]
	v_div_scale_f64 v[84:85], vcc_lo, v[66:67], v[14:15], v[66:67]
	v_mul_f64 v[86:87], v[84:85], v[70:71]
	v_fma_f64 v[68:69], -v[68:69], v[86:87], v[84:85]
	v_div_fmas_f64 v[68:69], v[68:69], v[70:71], v[86:87]
	v_div_fixup_f64 v[66:67], v[68:69], v[14:15], v[66:67]
	v_fma_f64 v[34:35], v[14:15], v[34:35], v[66:67]
	v_add_f64 v[34:35], v[34:35], s[6:7]
	s_mov_b32 s7, 0xc005cc47
	s_mov_b32 s6, 0xa049083
	v_add_f64 v[14:15], v[14:15], s[6:7]
	s_mov_b32 s7, 0x4005cc47
	v_div_scale_f64 v[66:67], null, v[14:15], v[14:15], s[6:7]
	v_rcp_f64_e32 v[68:69], v[66:67]
	v_fma_f64 v[70:71], -v[66:67], v[68:69], 1.0
	v_fma_f64 v[68:69], v[68:69], v[70:71], v[68:69]
	v_fma_f64 v[70:71], -v[66:67], v[68:69], 1.0
	v_fma_f64 v[68:69], v[68:69], v[70:71], v[68:69]
	v_div_scale_f64 v[70:71], vcc_lo, s[6:7], v[14:15], s[6:7]
	v_mul_f64 v[84:85], v[70:71], v[68:69]
	v_fma_f64 v[66:67], -v[66:67], v[84:85], v[70:71]
	v_div_fmas_f64 v[66:67], v[66:67], v[68:69], v[84:85]
	v_div_fixup_f64 v[14:15], v[66:67], v[14:15], s[6:7]
	v_fma_f64 v[34:35], v[34:35], v[82:83], v[14:15]
	v_add_f64 v[14:15], v[80:81], -v[30:31]
	v_add_f64 v[66:67], v[34:35], 1.0
	v_fma_f64 v[14:15], v[18:19], v[14:15], v[80:81]
	v_mul_f64 v[14:15], v[66:67], v[14:15]
	v_add_f64 v[66:67], v[34:35], -v[18:19]
	v_div_scale_f64 v[68:69], null, v[66:67], v[66:67], v[14:15]
	v_rcp_f64_e32 v[70:71], v[68:69]
	v_fma_f64 v[80:81], -v[68:69], v[70:71], 1.0
	v_fma_f64 v[70:71], v[70:71], v[80:81], v[70:71]
	v_fma_f64 v[80:81], -v[68:69], v[70:71], 1.0
	v_fma_f64 v[70:71], v[70:71], v[80:81], v[70:71]
	v_div_scale_f64 v[80:81], vcc_lo, v[14:15], v[66:67], v[14:15]
	v_mul_f64 v[82:83], v[80:81], v[70:71]
	v_fma_f64 v[68:69], -v[68:69], v[82:83], v[80:81]
	v_div_fmas_f64 v[68:69], v[68:69], v[70:71], v[82:83]
	v_div_fixup_f64 v[70:71], v[68:69], v[66:67], v[14:15]
	v_mov_b32_e32 v68, 0
	v_mov_b32_e32 v66, 0
	;; [unrolled: 1-line block ×4, first 2 shown]
	v_add_f64 v[30:31], v[30:31], -v[70:71]
.LBB0_123:
	s_or_b32 exec_lo, exec_lo, s4
                                        ; implicit-def: $vgpr80_vgpr81
.LBB0_124:
	s_andn2_saveexec_b32 s4, s22
	s_cbranch_execz .LBB0_128
; %bb.125:
	buffer_load_dword v14, off, s[0:3], s33 offset:720 ; 4-byte Folded Reload
	v_mov_b32_e32 v68, 0
	v_mov_b32_e32 v18, 0
	;; [unrolled: 1-line block ×4, first 2 shown]
	s_mov_b32 s5, exec_lo
	s_waitcnt vmcnt(0)
	v_cmpx_eq_u32_e32 0, v14
	s_cbranch_execz .LBB0_127
; %bb.126:
	v_add_f64 v[14:15], v[30:31], -v[80:81]
	v_div_scale_f64 v[18:19], null, v[14:15], v[14:15], v[80:81]
	v_rcp_f64_e32 v[34:35], v[18:19]
	v_fma_f64 v[66:67], -v[18:19], v[34:35], 1.0
	v_fma_f64 v[34:35], v[34:35], v[66:67], v[34:35]
	v_fma_f64 v[66:67], -v[18:19], v[34:35], 1.0
	v_fma_f64 v[34:35], v[34:35], v[66:67], v[34:35]
	v_div_scale_f64 v[66:67], vcc_lo, v[80:81], v[14:15], v[80:81]
	v_mul_f64 v[70:71], v[66:67], v[34:35]
	v_fma_f64 v[18:19], -v[18:19], v[70:71], v[66:67]
	v_div_fmas_f64 v[18:19], v[18:19], v[34:35], v[70:71]
	v_div_fixup_f64 v[18:19], v[18:19], v[14:15], v[80:81]
.LBB0_127:
	s_or_b32 exec_lo, exec_lo, s5
	v_mov_b32_e32 v70, 0
	v_mov_b32_e32 v66, 0
	;; [unrolled: 1-line block ×6, first 2 shown]
.LBB0_128:
	s_or_b32 exec_lo, exec_lo, s4
.LBB0_129:
	s_or_b32 exec_lo, exec_lo, s21
                                        ; implicit-def: $vgpr14_vgpr15
.LBB0_130:
	s_andn2_saveexec_b32 s10, s20
	s_cbranch_execz .LBB0_144
; %bb.131:
	s_mov_b32 s4, 0xb621ca13
	s_mov_b32 s5, 0xbfc80b5d
	;; [unrolled: 1-line block ×3, first 2 shown]
	v_div_scale_f64 v[18:19], null, v[14:15], v[14:15], s[4:5]
	v_div_scale_f64 v[66:67], vcc_lo, s[4:5], v[14:15], s[4:5]
	s_mov_b32 s7, 0x3fe921fb
	s_mov_b32 s8, 0xfefa39ef
	;; [unrolled: 1-line block ×3, first 2 shown]
	v_rcp_f64_e32 v[30:31], v[18:19]
	v_fma_f64 v[34:35], -v[18:19], v[30:31], 1.0
	v_fma_f64 v[30:31], v[30:31], v[34:35], v[30:31]
	v_fma_f64 v[34:35], -v[18:19], v[30:31], 1.0
	v_fma_f64 v[30:31], v[30:31], v[34:35], v[30:31]
	v_mul_f64 v[34:35], v[66:67], v[30:31]
	v_fma_f64 v[18:19], -v[18:19], v[34:35], v[66:67]
	v_div_fmas_f64 v[18:19], v[18:19], v[30:31], v[34:35]
	v_div_fixup_f64 v[18:19], v[18:19], v[14:15], s[4:5]
	s_mov_b32 s4, 0x1930dd58
	s_mov_b32 s5, 0x3fcd6df8
	v_add_f64 v[18:19], v[18:19], s[4:5]
	s_mov_b32 s4, 0xa84e6e89
	s_mov_b32 s5, 0xbfdfee97
	v_div_scale_f64 v[30:31], null, v[14:15], v[14:15], v[18:19]
	v_div_scale_f64 v[68:69], vcc_lo, v[18:19], v[14:15], v[18:19]
	v_rcp_f64_e32 v[34:35], v[30:31]
	v_fma_f64 v[66:67], -v[30:31], v[34:35], 1.0
	v_fma_f64 v[34:35], v[34:35], v[66:67], v[34:35]
	v_fma_f64 v[66:67], -v[30:31], v[34:35], 1.0
	v_fma_f64 v[34:35], v[34:35], v[66:67], v[34:35]
	v_mul_f64 v[66:67], v[68:69], v[34:35]
	v_fma_f64 v[30:31], -v[30:31], v[66:67], v[68:69]
	v_div_fmas_f64 v[30:31], v[30:31], v[34:35], v[66:67]
	v_div_scale_f64 v[34:35], null, v[14:15], v[14:15], s[6:7]
	v_div_fixup_f64 v[18:19], v[30:31], v[14:15], v[18:19]
	v_rcp_f64_e32 v[68:69], v[34:35]
	v_add_f64 v[18:19], v[18:19], s[4:5]
	s_mov_b32 s4, 0x652b82fe
	s_mov_b32 s5, 0xbff71547
	v_fma_f64 v[80:81], -v[34:35], v[68:69], 1.0
	v_mul_f64 v[82:83], v[14:15], s[4:5]
	v_div_scale_f64 v[30:31], null, v[14:15], v[14:15], v[18:19]
	v_div_scale_f64 v[84:85], vcc_lo, v[18:19], v[14:15], v[18:19]
	v_fma_f64 v[68:69], v[68:69], v[80:81], v[68:69]
	v_rcp_f64_e32 v[66:67], v[30:31]
	v_fma_f64 v[80:81], -v[34:35], v[68:69], 1.0
	v_fma_f64 v[70:71], -v[30:31], v[66:67], 1.0
	v_fma_f64 v[68:69], v[68:69], v[80:81], v[68:69]
	v_rndne_f64_e32 v[80:81], v[82:83]
	v_fma_f64 v[66:67], v[66:67], v[70:71], v[66:67]
	v_fma_f64 v[96:97], v[80:81], s[8:9], -v[14:15]
	s_mov_b32 s8, 0x3b39803f
	s_mov_b32 s9, 0xbc7abc9e
	v_fma_f64 v[70:71], -v[30:31], v[66:67], 1.0
	v_fma_f64 v[66:67], v[66:67], v[70:71], v[66:67]
	v_div_scale_f64 v[70:71], s4, s[6:7], v[14:15], s[6:7]
	v_mul_f64 v[82:83], v[84:85], v[66:67]
	v_mul_f64 v[86:87], v[70:71], v[68:69]
	v_fma_f64 v[30:31], -v[30:31], v[82:83], v[84:85]
	v_fma_f64 v[34:35], -v[34:35], v[86:87], v[70:71]
	v_fma_f64 v[70:71], v[80:81], s[8:9], v[96:97]
	s_mov_b32 s8, 0x6a5dcb37
	s_mov_b32 s9, 0x3e5ade15
	v_cvt_i32_f64_e32 v80, v[80:81]
	v_div_fmas_f64 v[30:31], v[30:31], v[66:67], v[82:83]
	s_mov_b32 vcc_lo, s4
	s_mov_b32 s4, 0xfca7ab0c
	v_div_fmas_f64 v[34:35], v[34:35], v[68:69], v[86:87]
	s_mov_b32 s5, 0x3e928af3
	v_fma_f64 v[66:67], v[70:71], s[8:9], s[4:5]
	s_mov_b32 s4, 0x623fde64
	s_mov_b32 s5, 0x3ec71dee
	v_div_fixup_f64 v[18:19], v[30:31], v[14:15], v[18:19]
	v_div_fixup_f64 v[34:35], v[34:35], v[14:15], s[6:7]
	v_fma_f64 v[66:67], v[70:71], v[66:67], s[4:5]
	s_mov_b32 s4, 0x7c89e6b0
	s_mov_b32 s5, 0x3efa0199
	v_cmp_gt_f64_e32 vcc_lo, 0x10000000, v[34:35]
	v_fma_f64 v[66:67], v[70:71], v[66:67], s[4:5]
	s_mov_b32 s4, 0x14761f6e
	s_mov_b32 s5, 0x3f2a01a0
	v_cndmask_b32_e64 v68, 0, 0x100, vcc_lo
	v_cndmask_b32_e64 v30, 0, 0xffffff80, vcc_lo
	v_fma_f64 v[66:67], v[70:71], v[66:67], s[4:5]
	s_mov_b32 s4, 0x1852b7b0
	v_ldexp_f64 v[34:35], v[34:35], v68
	s_mov_b32 s5, 0x3f56c16c
	v_fma_f64 v[66:67], v[70:71], v[66:67], s[4:5]
	s_mov_b32 s4, 0x11122322
	v_rsq_f64_e32 v[68:69], v[34:35]
	s_mov_b32 s5, 0x3f811111
	v_cmp_class_f64_e64 vcc_lo, v[34:35], 0x260
	v_fma_f64 v[66:67], v[70:71], v[66:67], s[4:5]
	s_mov_b32 s4, 0x555502a1
	s_mov_b32 s5, 0x3fa55555
	v_mul_f64 v[82:83], v[34:35], v[68:69]
	v_mul_f64 v[68:69], v[68:69], 0.5
	v_fma_f64 v[66:67], v[70:71], v[66:67], s[4:5]
	s_mov_b32 s4, 0x55555511
	s_mov_b32 s5, 0x3fc55555
	v_fma_f64 v[84:85], -v[68:69], v[82:83], 0.5
	v_fma_f64 v[66:67], v[70:71], v[66:67], s[4:5]
	s_mov_b32 s4, 11
	s_mov_b32 s5, 0x3fe00000
	v_fma_f64 v[82:83], v[82:83], v[84:85], v[82:83]
	v_fma_f64 v[68:69], v[68:69], v[84:85], v[68:69]
	;; [unrolled: 1-line block ×3, first 2 shown]
	s_mov_b32 s4, 0x3edd2a8f
	s_mov_b32 s5, 0xbef6fb2b
	v_add_f64 v[18:19], v[18:19], s[4:5]
	v_fma_f64 v[84:85], -v[82:83], v[82:83], v[34:35]
	v_fma_f64 v[66:67], v[70:71], v[66:67], 1.0
	v_fma_f64 v[82:83], v[84:85], v[68:69], v[82:83]
	v_fma_f64 v[66:67], v[70:71], v[66:67], 1.0
	v_fma_f64 v[84:85], -v[82:83], v[82:83], v[34:35]
	v_fma_f64 v[68:69], v[84:85], v[68:69], v[82:83]
	v_ldexp_f64 v[82:83], v[66:67], v80
	v_add_f64 v[84:85], v[14:15], v[14:15]
	v_ldexp_f64 v[30:31], v[68:69], v30
	v_cndmask_b32_e32 v31, v31, v35, vcc_lo
	v_cndmask_b32_e32 v30, v30, v34, vcc_lo
	v_fma_f64 v[30:31], v[18:19], v[82:83], v[30:31]
	v_add_f64 v[18:19], v[30:31], -v[82:83]
	v_div_scale_f64 v[34:35], null, v[84:85], v[84:85], v[18:19]
	v_rcp_f64_e32 v[66:67], v[34:35]
	v_fma_f64 v[68:69], -v[34:35], v[66:67], 1.0
	v_fma_f64 v[66:67], v[66:67], v[68:69], v[66:67]
	v_fma_f64 v[68:69], -v[34:35], v[66:67], 1.0
	v_fma_f64 v[66:67], v[66:67], v[68:69], v[66:67]
	v_div_scale_f64 v[68:69], vcc_lo, v[18:19], v[84:85], v[18:19]
	v_mul_f64 v[70:71], v[68:69], v[66:67]
	v_fma_f64 v[34:35], -v[34:35], v[70:71], v[68:69]
                                        ; implicit-def: $vgpr68_vgpr69
	v_div_fmas_f64 v[34:35], v[34:35], v[66:67], v[70:71]
                                        ; implicit-def: $vgpr70_vgpr71
                                        ; implicit-def: $vgpr66_vgpr67
	v_div_fixup_f64 v[80:81], v[34:35], v[84:85], v[18:19]
	buffer_load_dword v18, off, s[0:3], s33 offset:720 ; 4-byte Folded Reload
                                        ; implicit-def: $vgpr34_vgpr35
	s_waitcnt vmcnt(0)
	v_cmp_lt_i32_e32 vcc_lo, 0, v18
                                        ; implicit-def: $vgpr18_vgpr19
	s_and_saveexec_b32 s4, vcc_lo
	s_xor_b32 s11, exec_lo, s4
	s_cbranch_execz .LBB0_139
; %bb.132:
	buffer_load_dword v18, off, s[0:3], s33 offset:720 ; 4-byte Folded Reload
                                        ; implicit-def: $vgpr68_vgpr69
                                        ; implicit-def: $vgpr70_vgpr71
                                        ; implicit-def: $vgpr66_vgpr67
                                        ; implicit-def: $vgpr34_vgpr35
	s_waitcnt vmcnt(0)
	v_cmp_lt_i32_e32 vcc_lo, 1, v18
                                        ; implicit-def: $vgpr18_vgpr19
	s_and_saveexec_b32 s4, vcc_lo
	s_xor_b32 s12, exec_lo, s4
	s_cbranch_execz .LBB0_136
; %bb.133:
	buffer_load_dword v86, off, s[0:3], s33 offset:720 ; 4-byte Folded Reload
	v_mov_b32_e32 v68, 0
	v_mov_b32_e32 v70, 0
	v_mov_b32_e32 v66, 0
	v_mov_b32_e32 v34, 0
	v_mov_b32_e32 v18, 0
	v_mov_b32_e32 v69, 0
	v_mov_b32_e32 v71, 0
	v_mov_b32_e32 v67, 0
	v_mov_b32_e32 v35, 0
	v_mov_b32_e32 v19, 0
	s_mov_b32 s13, exec_lo
	s_waitcnt vmcnt(0)
	v_cmpx_eq_u32_e32 2, v86
	s_cbranch_execz .LBB0_135
; %bb.134:
	v_fma_f64 v[18:19], v[80:81], 2.0, v[80:81]
	s_mov_b32 s4, 0x94ee36f9
	s_mov_b32 s6, 0x10f47019
	;; [unrolled: 1-line block ×6, first 2 shown]
	v_add_f64 v[18:19], v[18:19], -v[82:83]
	v_div_scale_f64 v[34:35], null, v[84:85], v[84:85], v[18:19]
	v_rcp_f64_e32 v[66:67], v[34:35]
	v_fma_f64 v[68:69], -v[34:35], v[66:67], 1.0
	v_fma_f64 v[66:67], v[66:67], v[68:69], v[66:67]
	v_fma_f64 v[68:69], -v[34:35], v[66:67], 1.0
	v_fma_f64 v[66:67], v[66:67], v[68:69], v[66:67]
	v_div_scale_f64 v[68:69], vcc_lo, v[18:19], v[84:85], v[18:19]
	v_mul_f64 v[70:71], v[68:69], v[66:67]
	v_fma_f64 v[34:35], -v[34:35], v[70:71], v[68:69]
	v_div_fmas_f64 v[34:35], v[34:35], v[66:67], v[70:71]
	v_add_f64 v[66:67], 0xc0290000, v[14:15]
	v_div_fixup_f64 v[68:69], v[34:35], v[84:85], v[18:19]
	v_fma_f64 v[14:15], v[66:67], s[6:7], s[4:5]
	s_mov_b32 s4, 0xcbe87f6
	s_mov_b32 s5, 0x3d62edc5
	;; [unrolled: 1-line block ×4, first 2 shown]
	v_fma_f64 v[14:15], v[66:67], v[14:15], s[8:9]
	s_mov_b32 s8, 0x41bbab7c
	s_mov_b32 s9, 0x3cfedb34
	v_fma_f64 v[14:15], v[66:67], v[14:15], s[4:5]
	s_mov_b32 s4, 0xc8feadcf
	s_mov_b32 s5, 0x3d808e18
	;; [unrolled: 3-line block ×11, first 2 shown]
	v_add_f64 v[14:15], v[18:19], 1.0
	v_div_scale_f64 v[34:35], null, v[14:15], v[14:15], v[18:19]
	v_rcp_f64_e32 v[70:71], v[34:35]
	v_fma_f64 v[82:83], -v[34:35], v[70:71], 1.0
	v_fma_f64 v[70:71], v[70:71], v[82:83], v[70:71]
	v_fma_f64 v[82:83], -v[34:35], v[70:71], 1.0
	v_fma_f64 v[70:71], v[70:71], v[82:83], v[70:71]
	v_div_scale_f64 v[82:83], vcc_lo, v[18:19], v[14:15], v[18:19]
	v_mul_f64 v[84:85], v[82:83], v[70:71]
	v_fma_f64 v[34:35], -v[34:35], v[84:85], v[82:83]
	v_div_fmas_f64 v[70:71], v[34:35], v[70:71], v[84:85]
	v_fma_f64 v[34:35], v[66:67], s[8:9], s[6:7]
	s_mov_b32 s6, 0x870dd484
	s_mov_b32 s7, 0x3cece10c
	;; [unrolled: 1-line block ×4, first 2 shown]
	v_div_fixup_f64 v[14:15], v[70:71], v[14:15], v[18:19]
	v_fma_f64 v[34:35], v[66:67], v[34:35], s[4:5]
	s_mov_b32 s4, 0x941ba9c7
	s_mov_b32 s5, 0x3d9d36bc
	v_fma_f64 v[68:69], -v[80:81], v[14:15], v[68:69]
	v_fma_f64 v[34:35], v[66:67], v[34:35], s[4:5]
	s_mov_b32 s4, 0x5f24a935
	s_mov_b32 s5, 0x3dca61b8
	v_fma_f64 v[80:81], -v[30:31], v[14:15], v[80:81]
	v_fma_f64 v[34:35], v[66:67], v[34:35], s[4:5]
	s_mov_b32 s4, 0x161be543
	s_mov_b32 s5, 0xbe137bff
	v_fma_f64 v[34:35], v[66:67], v[34:35], s[4:5]
	s_mov_b32 s4, 0xc0992080
	s_mov_b32 s5, 0x3e3e6eae
	;; [unrolled: 3-line block ×9, first 2 shown]
	v_add_f64 v[82:83], v[34:35], 1.0
	v_div_scale_f64 v[84:85], null, v[82:83], v[82:83], v[34:35]
	v_rcp_f64_e32 v[86:87], v[84:85]
	v_fma_f64 v[96:97], -v[84:85], v[86:87], 1.0
	v_fma_f64 v[86:87], v[86:87], v[96:97], v[86:87]
	v_fma_f64 v[96:97], -v[84:85], v[86:87], 1.0
	v_fma_f64 v[86:87], v[86:87], v[96:97], v[86:87]
	v_div_scale_f64 v[96:97], vcc_lo, v[34:35], v[82:83], v[34:35]
	v_mul_f64 v[113:114], v[96:97], v[86:87]
	v_fma_f64 v[84:85], -v[84:85], v[113:114], v[96:97]
	v_div_fmas_f64 v[84:85], v[84:85], v[86:87], v[113:114]
	v_fma_f64 v[86:87], v[66:67], s[6:7], s[4:5]
	s_mov_b32 s4, 0x7793c71a
	s_mov_b32 s5, 0x3da307d7
	v_div_fixup_f64 v[70:71], v[84:85], v[82:83], v[34:35]
	v_fma_f64 v[86:87], v[66:67], v[86:87], s[8:9]
	v_fma_f64 v[84:85], -v[70:71], v[80:81], v[68:69]
	v_fma_f64 v[86:87], v[66:67], v[86:87], s[4:5]
	s_mov_b32 s4, 0xd1193be7
	s_mov_b32 s5, 0xbdceecd0
	v_fma_f64 v[86:87], v[66:67], v[86:87], s[4:5]
	s_mov_b32 s4, 0x39ed5332
	s_mov_b32 s5, 0xbe0a84e5
	;; [unrolled: 3-line block ×10, first 2 shown]
	v_fma_f64 v[66:67], v[66:67], v[86:87], s[4:5]
	v_add_f64 v[86:87], v[66:67], 1.0
	v_div_scale_f64 v[96:97], null, v[86:87], v[86:87], v[66:67]
	v_rcp_f64_e32 v[113:114], v[96:97]
	v_fma_f64 v[115:116], -v[96:97], v[113:114], 1.0
	v_fma_f64 v[113:114], v[113:114], v[115:116], v[113:114]
	v_fma_f64 v[115:116], -v[96:97], v[113:114], 1.0
	v_fma_f64 v[113:114], v[113:114], v[115:116], v[113:114]
	v_div_scale_f64 v[115:116], vcc_lo, v[66:67], v[86:87], v[66:67]
	v_mul_f64 v[117:118], v[115:116], v[113:114]
	v_fma_f64 v[96:97], -v[96:97], v[117:118], v[115:116]
	v_div_fmas_f64 v[96:97], v[96:97], v[113:114], v[117:118]
	v_div_fixup_f64 v[82:83], v[96:97], v[86:87], v[66:67]
	v_fma_f64 v[68:69], v[82:83], v[80:81], -v[68:69]
	v_add_f64 v[80:81], v[82:83], -v[70:71]
	v_add_f64 v[82:83], v[82:83], -v[14:15]
	;; [unrolled: 1-line block ×3, first 2 shown]
	v_mul_f64 v[82:83], v[80:81], v[82:83]
	v_mul_f64 v[14:15], v[14:15], v[80:81]
	v_div_scale_f64 v[86:87], null, v[82:83], v[82:83], v[84:85]
	v_div_scale_f64 v[70:71], null, v[14:15], v[14:15], v[68:69]
	v_rcp_f64_e32 v[96:97], v[86:87]
	v_rcp_f64_e32 v[80:81], v[70:71]
	v_fma_f64 v[113:114], -v[86:87], v[96:97], 1.0
	v_fma_f64 v[96:97], v[96:97], v[113:114], v[96:97]
	v_fma_f64 v[113:114], -v[86:87], v[96:97], 1.0
	v_fma_f64 v[96:97], v[96:97], v[113:114], v[96:97]
	v_div_scale_f64 v[113:114], vcc_lo, v[84:85], v[82:83], v[84:85]
	v_mul_f64 v[115:116], v[113:114], v[96:97]
	v_fma_f64 v[86:87], -v[86:87], v[115:116], v[113:114]
	v_div_fmas_f64 v[86:87], v[86:87], v[96:97], v[115:116]
	v_fma_f64 v[96:97], -v[70:71], v[80:81], 1.0
	v_fma_f64 v[80:81], v[80:81], v[96:97], v[80:81]
	v_fma_f64 v[96:97], -v[70:71], v[80:81], 1.0
	v_fma_f64 v[80:81], v[80:81], v[96:97], v[80:81]
	v_div_scale_f64 v[96:97], vcc_lo, v[68:69], v[14:15], v[68:69]
	v_mul_f64 v[113:114], v[96:97], v[80:81]
	v_fma_f64 v[70:71], -v[70:71], v[113:114], v[96:97]
	v_div_fmas_f64 v[70:71], v[70:71], v[80:81], v[113:114]
	v_div_fixup_f64 v[70:71], v[70:71], v[14:15], v[68:69]
	v_div_fixup_f64 v[68:69], v[86:87], v[82:83], v[84:85]
	v_add_f64 v[14:15], v[30:31], -v[70:71]
	v_add_f64 v[30:31], v[14:15], -v[68:69]
.LBB0_135:
	s_or_b32 exec_lo, exec_lo, s13
                                        ; implicit-def: $vgpr14_vgpr15
                                        ; implicit-def: $vgpr82_vgpr83
                                        ; implicit-def: $vgpr80_vgpr81
.LBB0_136:
	s_andn2_saveexec_b32 s4, s12
	s_cbranch_execz .LBB0_138
; %bb.137:
	s_mov_b32 s6, 0x864df747
	s_mov_b32 s8, 0x16a4b4d6
	s_mov_b32 s7, 0x3f53937b
	s_mov_b32 s9, 0xbee5309b
	v_fma_f64 v[18:19], v[14:15], s[8:9], s[6:7]
	s_mov_b32 s6, 0x181a5cbe
	s_mov_b32 s7, 0xbfb13f8e
	;; [unrolled: 1-line block ×4, first 2 shown]
	v_fma_f64 v[18:19], v[14:15], v[18:19], s[6:7]
	s_mov_b32 s6, 0x72eb3b81
	s_mov_b32 s7, 0x3ff41ce6
	v_fma_f64 v[18:19], v[14:15], v[18:19], s[6:7]
	s_mov_b32 s6, 0xfb97540
	s_mov_b32 s7, 0xc0c0c00c
	v_div_scale_f64 v[34:35], null, v[14:15], v[14:15], s[6:7]
	v_rcp_f64_e32 v[66:67], v[34:35]
	v_fma_f64 v[68:69], -v[34:35], v[66:67], 1.0
	v_fma_f64 v[66:67], v[66:67], v[68:69], v[66:67]
	v_fma_f64 v[68:69], -v[34:35], v[66:67], 1.0
	v_fma_f64 v[66:67], v[66:67], v[68:69], v[66:67]
	v_div_scale_f64 v[68:69], vcc_lo, s[6:7], v[14:15], s[6:7]
	v_mul_f64 v[70:71], v[68:69], v[66:67]
	v_fma_f64 v[34:35], -v[34:35], v[70:71], v[68:69]
	v_div_fmas_f64 v[34:35], v[34:35], v[66:67], v[70:71]
	v_div_fixup_f64 v[34:35], v[34:35], v[14:15], s[6:7]
	s_mov_b32 s6, 0x34922721
	s_mov_b32 s7, 0x40b7160f
	v_add_f64 v[34:35], v[34:35], s[6:7]
	s_mov_b32 s6, 0x9d14ec54
	s_mov_b32 s7, 0xc09ab04e
	v_div_scale_f64 v[66:67], null, v[14:15], v[14:15], v[34:35]
	v_rcp_f64_e32 v[68:69], v[66:67]
	v_fma_f64 v[70:71], -v[66:67], v[68:69], 1.0
	v_fma_f64 v[68:69], v[68:69], v[70:71], v[68:69]
	v_fma_f64 v[70:71], -v[66:67], v[68:69], 1.0
	v_fma_f64 v[68:69], v[68:69], v[70:71], v[68:69]
	v_div_scale_f64 v[70:71], vcc_lo, v[34:35], v[14:15], v[34:35]
	v_mul_f64 v[84:85], v[70:71], v[68:69]
	v_fma_f64 v[66:67], -v[66:67], v[84:85], v[70:71]
	v_div_fmas_f64 v[66:67], v[66:67], v[68:69], v[84:85]
	v_div_fixup_f64 v[34:35], v[66:67], v[14:15], v[34:35]
	v_add_f64 v[34:35], v[34:35], s[6:7]
	s_mov_b32 s6, 0x48360283
	s_mov_b32 s7, 0x40708896
	v_div_scale_f64 v[66:67], null, v[14:15], v[14:15], v[34:35]
	v_rcp_f64_e32 v[68:69], v[66:67]
	v_fma_f64 v[70:71], -v[66:67], v[68:69], 1.0
	v_fma_f64 v[68:69], v[68:69], v[70:71], v[68:69]
	v_fma_f64 v[70:71], -v[66:67], v[68:69], 1.0
	v_fma_f64 v[68:69], v[68:69], v[70:71], v[68:69]
	v_div_scale_f64 v[70:71], vcc_lo, v[34:35], v[14:15], v[34:35]
	v_mul_f64 v[84:85], v[70:71], v[68:69]
	v_fma_f64 v[66:67], -v[66:67], v[84:85], v[70:71]
	v_div_fmas_f64 v[66:67], v[66:67], v[68:69], v[84:85]
	v_div_fixup_f64 v[34:35], v[66:67], v[14:15], v[34:35]
	;; [unrolled: 14-line block ×3, first 2 shown]
	v_fma_f64 v[18:19], v[14:15], v[18:19], v[34:35]
	v_add_f64 v[18:19], v[18:19], s[6:7]
	s_mov_b32 s7, 0xbfd19dc7
	s_mov_b32 s6, 0xafdb7b47
	v_add_f64 v[34:35], v[14:15], s[6:7]
	s_mov_b32 s7, 0x3fd19dc7
	v_div_scale_f64 v[66:67], null, v[34:35], v[34:35], s[6:7]
	v_rcp_f64_e32 v[68:69], v[66:67]
	v_fma_f64 v[70:71], -v[66:67], v[68:69], 1.0
	v_fma_f64 v[68:69], v[68:69], v[70:71], v[68:69]
	v_fma_f64 v[70:71], -v[66:67], v[68:69], 1.0
	v_fma_f64 v[68:69], v[68:69], v[70:71], v[68:69]
	v_div_scale_f64 v[70:71], vcc_lo, s[6:7], v[34:35], s[6:7]
	v_mul_f64 v[84:85], v[70:71], v[68:69]
	v_fma_f64 v[66:67], -v[66:67], v[84:85], v[70:71]
	v_div_fmas_f64 v[66:67], v[66:67], v[68:69], v[84:85]
	v_div_fixup_f64 v[34:35], v[66:67], v[34:35], s[6:7]
	s_mov_b32 s6, 0x29a9a022
	s_mov_b32 s7, 0xbfb7ef76
	v_fma_f64 v[18:19], v[18:19], v[82:83], v[34:35]
	v_fma_f64 v[34:35], v[14:15], s[8:9], s[6:7]
	s_mov_b32 s6, 0x2d914f9c
	s_mov_b32 s7, 0xc010e37f
	v_fma_f64 v[34:35], v[14:15], v[34:35], s[6:7]
	s_mov_b32 s6, 0x19de963f
	s_mov_b32 s7, 0xc0a04924
	v_div_scale_f64 v[66:67], null, v[14:15], v[14:15], s[6:7]
	v_rcp_f64_e32 v[68:69], v[66:67]
	v_fma_f64 v[70:71], -v[66:67], v[68:69], 1.0
	v_fma_f64 v[68:69], v[68:69], v[70:71], v[68:69]
	v_fma_f64 v[70:71], -v[66:67], v[68:69], 1.0
	v_fma_f64 v[68:69], v[68:69], v[70:71], v[68:69]
	v_div_scale_f64 v[70:71], vcc_lo, s[6:7], v[14:15], s[6:7]
	v_mul_f64 v[84:85], v[70:71], v[68:69]
	v_fma_f64 v[66:67], -v[66:67], v[84:85], v[70:71]
	v_div_fmas_f64 v[66:67], v[66:67], v[68:69], v[84:85]
	v_div_fixup_f64 v[66:67], v[66:67], v[14:15], s[6:7]
	s_mov_b32 s6, 0x7f0e6f2c
	s_mov_b32 s7, 0xc09067f6
	v_add_f64 v[66:67], v[66:67], s[6:7]
	s_mov_b32 s6, 0x9eeef91a
	s_mov_b32 s7, 0x40753e43
	v_div_scale_f64 v[68:69], null, v[14:15], v[14:15], v[66:67]
	v_rcp_f64_e32 v[70:71], v[68:69]
	v_fma_f64 v[84:85], -v[68:69], v[70:71], 1.0
	v_fma_f64 v[70:71], v[70:71], v[84:85], v[70:71]
	v_fma_f64 v[84:85], -v[68:69], v[70:71], 1.0
	v_fma_f64 v[70:71], v[70:71], v[84:85], v[70:71]
	v_div_scale_f64 v[84:85], vcc_lo, v[66:67], v[14:15], v[66:67]
	v_mul_f64 v[86:87], v[84:85], v[70:71]
	v_fma_f64 v[68:69], -v[68:69], v[86:87], v[84:85]
	v_div_fmas_f64 v[68:69], v[68:69], v[70:71], v[86:87]
	v_div_fixup_f64 v[66:67], v[68:69], v[14:15], v[66:67]
	v_add_f64 v[66:67], v[66:67], s[6:7]
	s_mov_b32 s6, 0xe25f0df2
	s_mov_b32 s7, 0xc06385e9
	v_div_scale_f64 v[68:69], null, v[14:15], v[14:15], v[66:67]
	v_rcp_f64_e32 v[70:71], v[68:69]
	v_fma_f64 v[84:85], -v[68:69], v[70:71], 1.0
	v_fma_f64 v[70:71], v[70:71], v[84:85], v[70:71]
	v_fma_f64 v[84:85], -v[68:69], v[70:71], 1.0
	v_fma_f64 v[70:71], v[70:71], v[84:85], v[70:71]
	v_div_scale_f64 v[84:85], vcc_lo, v[66:67], v[14:15], v[66:67]
	v_mul_f64 v[86:87], v[84:85], v[70:71]
	v_fma_f64 v[68:69], -v[68:69], v[86:87], v[84:85]
	v_div_fmas_f64 v[68:69], v[68:69], v[70:71], v[86:87]
	v_div_fixup_f64 v[66:67], v[68:69], v[14:15], v[66:67]
	;; [unrolled: 14-line block ×3, first 2 shown]
	v_fma_f64 v[34:35], v[14:15], v[34:35], v[66:67]
	v_add_f64 v[34:35], v[34:35], s[6:7]
	s_mov_b32 s7, 0xc005cc47
	s_mov_b32 s6, 0xa049083
	v_add_f64 v[14:15], v[14:15], s[6:7]
	s_mov_b32 s7, 0x4005cc47
	v_div_scale_f64 v[66:67], null, v[14:15], v[14:15], s[6:7]
	v_rcp_f64_e32 v[68:69], v[66:67]
	v_fma_f64 v[70:71], -v[66:67], v[68:69], 1.0
	v_fma_f64 v[68:69], v[68:69], v[70:71], v[68:69]
	v_fma_f64 v[70:71], -v[66:67], v[68:69], 1.0
	v_fma_f64 v[68:69], v[68:69], v[70:71], v[68:69]
	v_div_scale_f64 v[70:71], vcc_lo, s[6:7], v[14:15], s[6:7]
	v_mul_f64 v[84:85], v[70:71], v[68:69]
	v_fma_f64 v[66:67], -v[66:67], v[84:85], v[70:71]
	v_div_fmas_f64 v[66:67], v[66:67], v[68:69], v[84:85]
	v_div_fixup_f64 v[14:15], v[66:67], v[14:15], s[6:7]
	v_fma_f64 v[34:35], v[34:35], v[82:83], v[14:15]
	v_add_f64 v[14:15], v[80:81], -v[30:31]
	v_add_f64 v[66:67], v[34:35], 1.0
	v_fma_f64 v[14:15], v[18:19], v[14:15], v[80:81]
	v_mul_f64 v[14:15], v[66:67], v[14:15]
	v_add_f64 v[66:67], v[34:35], -v[18:19]
	v_div_scale_f64 v[68:69], null, v[66:67], v[66:67], v[14:15]
	v_rcp_f64_e32 v[70:71], v[68:69]
	v_fma_f64 v[80:81], -v[68:69], v[70:71], 1.0
	v_fma_f64 v[70:71], v[70:71], v[80:81], v[70:71]
	v_fma_f64 v[80:81], -v[68:69], v[70:71], 1.0
	v_fma_f64 v[70:71], v[70:71], v[80:81], v[70:71]
	v_div_scale_f64 v[80:81], vcc_lo, v[14:15], v[66:67], v[14:15]
	v_mul_f64 v[82:83], v[80:81], v[70:71]
	v_fma_f64 v[68:69], -v[68:69], v[82:83], v[80:81]
	v_div_fmas_f64 v[68:69], v[68:69], v[70:71], v[82:83]
	v_div_fixup_f64 v[70:71], v[68:69], v[66:67], v[14:15]
	v_mov_b32_e32 v68, 0
	v_mov_b32_e32 v66, 0
	;; [unrolled: 1-line block ×4, first 2 shown]
	v_add_f64 v[30:31], v[30:31], -v[70:71]
.LBB0_138:
	s_or_b32 exec_lo, exec_lo, s4
                                        ; implicit-def: $vgpr80_vgpr81
.LBB0_139:
	s_andn2_saveexec_b32 s4, s11
	s_cbranch_execz .LBB0_143
; %bb.140:
	buffer_load_dword v14, off, s[0:3], s33 offset:720 ; 4-byte Folded Reload
	v_mov_b32_e32 v68, 0
	v_mov_b32_e32 v18, 0
	;; [unrolled: 1-line block ×4, first 2 shown]
	s_mov_b32 s5, exec_lo
	s_waitcnt vmcnt(0)
	v_cmpx_eq_u32_e32 0, v14
	s_cbranch_execz .LBB0_142
; %bb.141:
	v_add_f64 v[14:15], v[30:31], -v[80:81]
	v_div_scale_f64 v[18:19], null, v[14:15], v[14:15], v[80:81]
	v_rcp_f64_e32 v[34:35], v[18:19]
	v_fma_f64 v[66:67], -v[18:19], v[34:35], 1.0
	v_fma_f64 v[34:35], v[34:35], v[66:67], v[34:35]
	v_fma_f64 v[66:67], -v[18:19], v[34:35], 1.0
	v_fma_f64 v[34:35], v[34:35], v[66:67], v[34:35]
	v_div_scale_f64 v[66:67], vcc_lo, v[80:81], v[14:15], v[80:81]
	v_mul_f64 v[70:71], v[66:67], v[34:35]
	v_fma_f64 v[18:19], -v[18:19], v[70:71], v[66:67]
	v_div_fmas_f64 v[18:19], v[18:19], v[34:35], v[70:71]
	v_div_fixup_f64 v[18:19], v[18:19], v[14:15], v[80:81]
.LBB0_142:
	s_or_b32 exec_lo, exec_lo, s5
	v_mov_b32_e32 v70, 0
	v_mov_b32_e32 v66, 0
	;; [unrolled: 1-line block ×6, first 2 shown]
.LBB0_143:
	s_or_b32 exec_lo, exec_lo, s4
.LBB0_144:
	s_or_b32 exec_lo, exec_lo, s10
                                        ; implicit-def: $vgpr14_vgpr15
.LBB0_145:
	s_andn2_saveexec_b32 s10, s19
	s_cbranch_execz .LBB0_159
; %bb.146:
	s_mov_b32 s4, 0x320c7c1b
	s_mov_b32 s5, 0x3fde03b0
	;; [unrolled: 1-line block ×3, first 2 shown]
	v_div_scale_f64 v[18:19], null, v[14:15], v[14:15], s[4:5]
	v_div_scale_f64 v[66:67], vcc_lo, s[4:5], v[14:15], s[4:5]
	s_mov_b32 s7, 0x3fe921fb
	s_mov_b32 s8, 0xfefa39ef
	;; [unrolled: 1-line block ×3, first 2 shown]
	v_rcp_f64_e32 v[30:31], v[18:19]
	v_fma_f64 v[34:35], -v[18:19], v[30:31], 1.0
	v_fma_f64 v[30:31], v[30:31], v[34:35], v[30:31]
	v_fma_f64 v[34:35], -v[18:19], v[30:31], 1.0
	v_fma_f64 v[30:31], v[30:31], v[34:35], v[30:31]
	v_mul_f64 v[34:35], v[66:67], v[30:31]
	v_fma_f64 v[18:19], -v[18:19], v[34:35], v[66:67]
	v_div_fmas_f64 v[18:19], v[18:19], v[30:31], v[34:35]
	v_div_fixup_f64 v[18:19], v[18:19], v[14:15], s[4:5]
	s_mov_b32 s4, 0x500ec265
	s_mov_b32 s5, 0xbfe662c3
	v_add_f64 v[18:19], v[18:19], s[4:5]
	s_mov_b32 s4, 0xe0bf7fc2
	s_mov_b32 s5, 0x3fe12e39
	v_div_scale_f64 v[30:31], null, v[14:15], v[14:15], v[18:19]
	v_div_scale_f64 v[68:69], vcc_lo, v[18:19], v[14:15], v[18:19]
	v_rcp_f64_e32 v[34:35], v[30:31]
	v_fma_f64 v[66:67], -v[30:31], v[34:35], 1.0
	v_fma_f64 v[34:35], v[34:35], v[66:67], v[34:35]
	v_fma_f64 v[66:67], -v[30:31], v[34:35], 1.0
	v_fma_f64 v[34:35], v[34:35], v[66:67], v[34:35]
	v_mul_f64 v[66:67], v[68:69], v[34:35]
	v_fma_f64 v[30:31], -v[30:31], v[66:67], v[68:69]
	v_div_fmas_f64 v[30:31], v[30:31], v[34:35], v[66:67]
	v_div_fixup_f64 v[18:19], v[30:31], v[14:15], v[18:19]
	v_add_f64 v[18:19], v[18:19], s[4:5]
	s_mov_b32 s4, 0x4299d9ed
	s_mov_b32 s5, 0xbfd50b8e
	v_div_scale_f64 v[30:31], null, v[14:15], v[14:15], v[18:19]
	v_div_scale_f64 v[68:69], vcc_lo, v[18:19], v[14:15], v[18:19]
	v_rcp_f64_e32 v[34:35], v[30:31]
	v_fma_f64 v[66:67], -v[30:31], v[34:35], 1.0
	v_fma_f64 v[34:35], v[34:35], v[66:67], v[34:35]
	v_fma_f64 v[66:67], -v[30:31], v[34:35], 1.0
	v_fma_f64 v[34:35], v[34:35], v[66:67], v[34:35]
	v_mul_f64 v[66:67], v[68:69], v[34:35]
	v_fma_f64 v[30:31], -v[30:31], v[66:67], v[68:69]
	v_div_fmas_f64 v[30:31], v[30:31], v[34:35], v[66:67]
	v_div_fixup_f64 v[18:19], v[30:31], v[14:15], v[18:19]
	;; [unrolled: 14-line block ×3, first 2 shown]
	v_add_f64 v[18:19], v[18:19], s[4:5]
	s_mov_b32 s4, 0xf7832524
	s_mov_b32 s5, 0xbfdffd63
	v_div_scale_f64 v[30:31], null, v[14:15], v[14:15], v[18:19]
	v_div_scale_f64 v[68:69], vcc_lo, v[18:19], v[14:15], v[18:19]
	v_rcp_f64_e32 v[34:35], v[30:31]
	v_fma_f64 v[66:67], -v[30:31], v[34:35], 1.0
	v_fma_f64 v[34:35], v[34:35], v[66:67], v[34:35]
	v_fma_f64 v[66:67], -v[30:31], v[34:35], 1.0
	v_fma_f64 v[34:35], v[34:35], v[66:67], v[34:35]
	v_mul_f64 v[66:67], v[68:69], v[34:35]
	v_fma_f64 v[30:31], -v[30:31], v[66:67], v[68:69]
	v_div_fmas_f64 v[30:31], v[30:31], v[34:35], v[66:67]
	v_div_scale_f64 v[34:35], null, v[14:15], v[14:15], s[6:7]
	v_div_fixup_f64 v[18:19], v[30:31], v[14:15], v[18:19]
	v_rcp_f64_e32 v[68:69], v[34:35]
	v_add_f64 v[18:19], v[18:19], s[4:5]
	s_mov_b32 s4, 0x652b82fe
	s_mov_b32 s5, 0xbff71547
	v_fma_f64 v[80:81], -v[34:35], v[68:69], 1.0
	v_mul_f64 v[82:83], v[14:15], s[4:5]
	v_div_scale_f64 v[30:31], null, v[14:15], v[14:15], v[18:19]
	v_div_scale_f64 v[84:85], vcc_lo, v[18:19], v[14:15], v[18:19]
	v_fma_f64 v[68:69], v[68:69], v[80:81], v[68:69]
	v_rcp_f64_e32 v[66:67], v[30:31]
	v_fma_f64 v[80:81], -v[34:35], v[68:69], 1.0
	v_fma_f64 v[70:71], -v[30:31], v[66:67], 1.0
	v_fma_f64 v[68:69], v[68:69], v[80:81], v[68:69]
	v_rndne_f64_e32 v[80:81], v[82:83]
	v_fma_f64 v[66:67], v[66:67], v[70:71], v[66:67]
	v_fma_f64 v[96:97], v[80:81], s[8:9], -v[14:15]
	s_mov_b32 s8, 0x3b39803f
	s_mov_b32 s9, 0xbc7abc9e
	v_fma_f64 v[70:71], -v[30:31], v[66:67], 1.0
	v_fma_f64 v[66:67], v[66:67], v[70:71], v[66:67]
	v_div_scale_f64 v[70:71], s4, s[6:7], v[14:15], s[6:7]
	v_mul_f64 v[82:83], v[84:85], v[66:67]
	v_mul_f64 v[86:87], v[70:71], v[68:69]
	v_fma_f64 v[30:31], -v[30:31], v[82:83], v[84:85]
	v_fma_f64 v[34:35], -v[34:35], v[86:87], v[70:71]
	v_fma_f64 v[70:71], v[80:81], s[8:9], v[96:97]
	s_mov_b32 s8, 0x6a5dcb37
	s_mov_b32 s9, 0x3e5ade15
	v_cvt_i32_f64_e32 v80, v[80:81]
	v_div_fmas_f64 v[30:31], v[30:31], v[66:67], v[82:83]
	s_mov_b32 vcc_lo, s4
	s_mov_b32 s4, 0xfca7ab0c
	v_div_fmas_f64 v[34:35], v[34:35], v[68:69], v[86:87]
	s_mov_b32 s5, 0x3e928af3
	v_fma_f64 v[66:67], v[70:71], s[8:9], s[4:5]
	s_mov_b32 s4, 0x623fde64
	s_mov_b32 s5, 0x3ec71dee
	v_div_fixup_f64 v[18:19], v[30:31], v[14:15], v[18:19]
	v_div_fixup_f64 v[34:35], v[34:35], v[14:15], s[6:7]
	v_fma_f64 v[66:67], v[70:71], v[66:67], s[4:5]
	s_mov_b32 s4, 0x7c89e6b0
	s_mov_b32 s5, 0x3efa0199
	v_cmp_gt_f64_e32 vcc_lo, 0x10000000, v[34:35]
	v_fma_f64 v[66:67], v[70:71], v[66:67], s[4:5]
	s_mov_b32 s4, 0x14761f6e
	s_mov_b32 s5, 0x3f2a01a0
	v_cndmask_b32_e64 v68, 0, 0x100, vcc_lo
	v_cndmask_b32_e64 v30, 0, 0xffffff80, vcc_lo
	v_fma_f64 v[66:67], v[70:71], v[66:67], s[4:5]
	s_mov_b32 s4, 0x1852b7b0
	v_ldexp_f64 v[34:35], v[34:35], v68
	s_mov_b32 s5, 0x3f56c16c
	v_fma_f64 v[66:67], v[70:71], v[66:67], s[4:5]
	s_mov_b32 s4, 0x11122322
	v_rsq_f64_e32 v[68:69], v[34:35]
	s_mov_b32 s5, 0x3f811111
	v_cmp_class_f64_e64 vcc_lo, v[34:35], 0x260
	v_fma_f64 v[66:67], v[70:71], v[66:67], s[4:5]
	s_mov_b32 s4, 0x555502a1
	s_mov_b32 s5, 0x3fa55555
	v_mul_f64 v[82:83], v[34:35], v[68:69]
	v_mul_f64 v[68:69], v[68:69], 0.5
	v_fma_f64 v[66:67], v[70:71], v[66:67], s[4:5]
	s_mov_b32 s4, 0x55555511
	s_mov_b32 s5, 0x3fc55555
	v_fma_f64 v[84:85], -v[68:69], v[82:83], 0.5
	v_fma_f64 v[66:67], v[70:71], v[66:67], s[4:5]
	s_mov_b32 s4, 11
	s_mov_b32 s5, 0x3fe00000
	v_fma_f64 v[82:83], v[82:83], v[84:85], v[82:83]
	v_fma_f64 v[68:69], v[68:69], v[84:85], v[68:69]
	;; [unrolled: 1-line block ×3, first 2 shown]
	s_mov_b32 s4, 0x1eb6fd83
	s_mov_b32 s5, 0xbeca6cce
	v_add_f64 v[18:19], v[18:19], s[4:5]
	v_fma_f64 v[84:85], -v[82:83], v[82:83], v[34:35]
	v_fma_f64 v[66:67], v[70:71], v[66:67], 1.0
	v_fma_f64 v[82:83], v[84:85], v[68:69], v[82:83]
	v_fma_f64 v[66:67], v[70:71], v[66:67], 1.0
	v_fma_f64 v[84:85], -v[82:83], v[82:83], v[34:35]
	v_fma_f64 v[68:69], v[84:85], v[68:69], v[82:83]
	v_ldexp_f64 v[84:85], v[66:67], v80
	v_add_f64 v[82:83], v[14:15], v[14:15]
	v_ldexp_f64 v[30:31], v[68:69], v30
	v_cndmask_b32_e32 v31, v31, v35, vcc_lo
	v_cndmask_b32_e32 v30, v30, v34, vcc_lo
	v_fma_f64 v[30:31], v[18:19], v[84:85], v[30:31]
	v_add_f64 v[18:19], v[30:31], -v[84:85]
	v_div_scale_f64 v[34:35], null, v[82:83], v[82:83], v[18:19]
	v_rcp_f64_e32 v[66:67], v[34:35]
	v_fma_f64 v[68:69], -v[34:35], v[66:67], 1.0
	v_fma_f64 v[66:67], v[66:67], v[68:69], v[66:67]
	v_fma_f64 v[68:69], -v[34:35], v[66:67], 1.0
	v_fma_f64 v[66:67], v[66:67], v[68:69], v[66:67]
	v_div_scale_f64 v[68:69], vcc_lo, v[18:19], v[82:83], v[18:19]
	v_mul_f64 v[70:71], v[68:69], v[66:67]
	v_fma_f64 v[34:35], -v[34:35], v[70:71], v[68:69]
                                        ; implicit-def: $vgpr68_vgpr69
	v_div_fmas_f64 v[34:35], v[34:35], v[66:67], v[70:71]
                                        ; implicit-def: $vgpr70_vgpr71
                                        ; implicit-def: $vgpr66_vgpr67
	v_div_fixup_f64 v[80:81], v[34:35], v[82:83], v[18:19]
	buffer_load_dword v18, off, s[0:3], s33 offset:720 ; 4-byte Folded Reload
                                        ; implicit-def: $vgpr34_vgpr35
	s_waitcnt vmcnt(0)
	v_cmp_lt_i32_e32 vcc_lo, 0, v18
                                        ; implicit-def: $vgpr18_vgpr19
	s_and_saveexec_b32 s4, vcc_lo
	s_xor_b32 s11, exec_lo, s4
	s_cbranch_execz .LBB0_154
; %bb.147:
	buffer_load_dword v18, off, s[0:3], s33 offset:720 ; 4-byte Folded Reload
                                        ; implicit-def: $vgpr68_vgpr69
                                        ; implicit-def: $vgpr70_vgpr71
                                        ; implicit-def: $vgpr66_vgpr67
                                        ; implicit-def: $vgpr34_vgpr35
	s_waitcnt vmcnt(0)
	v_cmp_lt_i32_e32 vcc_lo, 1, v18
                                        ; implicit-def: $vgpr18_vgpr19
	s_and_saveexec_b32 s4, vcc_lo
	s_xor_b32 s12, exec_lo, s4
	s_cbranch_execz .LBB0_151
; %bb.148:
	buffer_load_dword v86, off, s[0:3], s33 offset:720 ; 4-byte Folded Reload
	v_mov_b32_e32 v68, 0
	v_mov_b32_e32 v70, 0
	;; [unrolled: 1-line block ×10, first 2 shown]
	s_mov_b32 s13, exec_lo
	s_waitcnt vmcnt(0)
	v_cmpx_eq_u32_e32 2, v86
	s_cbranch_execz .LBB0_150
; %bb.149:
	v_fma_f64 v[18:19], v[80:81], 2.0, v[80:81]
	s_mov_b32 s4, 0xd44f4e0
	s_mov_b32 s6, 0x136ccd62
	;; [unrolled: 1-line block ×6, first 2 shown]
	v_add_f64 v[18:19], v[18:19], -v[84:85]
	v_div_scale_f64 v[34:35], null, v[82:83], v[82:83], v[18:19]
	v_rcp_f64_e32 v[66:67], v[34:35]
	v_fma_f64 v[68:69], -v[34:35], v[66:67], 1.0
	v_fma_f64 v[66:67], v[66:67], v[68:69], v[66:67]
	v_fma_f64 v[68:69], -v[34:35], v[66:67], 1.0
	v_fma_f64 v[66:67], v[66:67], v[68:69], v[66:67]
	v_div_scale_f64 v[68:69], vcc_lo, v[18:19], v[82:83], v[18:19]
	v_mul_f64 v[70:71], v[68:69], v[66:67]
	v_fma_f64 v[34:35], -v[34:35], v[70:71], v[68:69]
	v_div_fmas_f64 v[34:35], v[34:35], v[66:67], v[70:71]
	v_add_f64 v[66:67], 0xc01e0000, v[14:15]
	v_div_fixup_f64 v[68:69], v[34:35], v[82:83], v[18:19]
	v_fma_f64 v[14:15], v[66:67], s[6:7], s[4:5]
	s_mov_b32 s4, 0x9c556712
	s_mov_b32 s5, 0xbd660aa9
	;; [unrolled: 1-line block ×4, first 2 shown]
	v_fma_f64 v[14:15], v[66:67], v[14:15], s[8:9]
	s_mov_b32 s8, 0x83f527a3
	s_mov_b32 s9, 0x3d098cc2
	v_fma_f64 v[14:15], v[66:67], v[14:15], s[4:5]
	s_mov_b32 s4, 0x75efb890
	s_mov_b32 s5, 0x3daced26
	v_fma_f64 v[14:15], v[66:67], v[14:15], s[4:5]
	s_mov_b32 s4, 0x55cf02c0
	s_mov_b32 s5, 0xbdc74d93
	v_fma_f64 v[14:15], v[66:67], v[14:15], s[4:5]
	s_mov_b32 s4, 0x6f2ea6b6
	s_mov_b32 s5, 0x3e17e2b5
	v_fma_f64 v[14:15], v[66:67], v[14:15], s[4:5]
	s_mov_b32 s4, 0x68fa980
	s_mov_b32 s5, 0xbe68fd17
	v_fma_f64 v[14:15], v[66:67], v[14:15], s[4:5]
	s_mov_b32 s4, 0x41157ea1
	s_mov_b32 s5, 0x3ea8a640
	v_fma_f64 v[14:15], v[66:67], v[14:15], s[4:5]
	s_mov_b32 s4, 0xd0855b78
	s_mov_b32 s5, 0xbee6c96c
	v_fma_f64 v[14:15], v[66:67], v[14:15], s[4:5]
	s_mov_b32 s4, 0x56e5c846
	s_mov_b32 s5, 0x3f27525a
	v_fma_f64 v[14:15], v[66:67], v[14:15], s[4:5]
	s_mov_b32 s4, 0xf0463afc
	s_mov_b32 s5, 0xbf63a654
	v_fma_f64 v[14:15], v[66:67], v[14:15], s[4:5]
	s_mov_b32 s4, 0x24a6a762
	s_mov_b32 s5, 0x3f987c2f
	v_fma_f64 v[18:19], v[66:67], v[14:15], s[4:5]
	s_mov_b32 s4, 0x9914dc55
	s_mov_b32 s5, 0xbd6e3e3e
	v_add_f64 v[14:15], v[18:19], 1.0
	v_div_scale_f64 v[34:35], null, v[14:15], v[14:15], v[18:19]
	v_rcp_f64_e32 v[70:71], v[34:35]
	v_fma_f64 v[82:83], -v[34:35], v[70:71], 1.0
	v_fma_f64 v[70:71], v[70:71], v[82:83], v[70:71]
	v_fma_f64 v[82:83], -v[34:35], v[70:71], 1.0
	v_fma_f64 v[70:71], v[70:71], v[82:83], v[70:71]
	v_div_scale_f64 v[82:83], vcc_lo, v[18:19], v[14:15], v[18:19]
	v_mul_f64 v[84:85], v[82:83], v[70:71]
	v_fma_f64 v[34:35], -v[34:35], v[84:85], v[82:83]
	v_div_fmas_f64 v[70:71], v[34:35], v[70:71], v[84:85]
	v_fma_f64 v[34:35], v[66:67], s[8:9], s[6:7]
	s_mov_b32 s6, 0xd4a5627c
	s_mov_b32 s7, 0x3cfe025e
	;; [unrolled: 1-line block ×4, first 2 shown]
	v_div_fixup_f64 v[14:15], v[70:71], v[14:15], v[18:19]
	v_fma_f64 v[34:35], v[66:67], v[34:35], s[4:5]
	s_mov_b32 s4, 0x339d6523
	s_mov_b32 s5, 0xbd974816
	v_fma_f64 v[68:69], -v[80:81], v[14:15], v[68:69]
	v_fma_f64 v[34:35], v[66:67], v[34:35], s[4:5]
	s_mov_b32 s4, 0x7f28a30b
	s_mov_b32 s5, 0xbdbb66d9
	v_fma_f64 v[80:81], -v[30:31], v[14:15], v[80:81]
	v_fma_f64 v[34:35], v[66:67], v[34:35], s[4:5]
	s_mov_b32 s4, 0x4c5f0791
	s_mov_b32 s5, 0x3e278252
	v_fma_f64 v[34:35], v[66:67], v[34:35], s[4:5]
	s_mov_b32 s4, 0xa083a647
	s_mov_b32 s5, 0xbe46e787
	;; [unrolled: 3-line block ×9, first 2 shown]
	v_add_f64 v[82:83], v[34:35], 1.0
	v_div_scale_f64 v[84:85], null, v[82:83], v[82:83], v[34:35]
	v_rcp_f64_e32 v[86:87], v[84:85]
	v_fma_f64 v[96:97], -v[84:85], v[86:87], 1.0
	v_fma_f64 v[86:87], v[86:87], v[96:97], v[86:87]
	v_fma_f64 v[96:97], -v[84:85], v[86:87], 1.0
	v_fma_f64 v[86:87], v[86:87], v[96:97], v[86:87]
	v_div_scale_f64 v[96:97], vcc_lo, v[34:35], v[82:83], v[34:35]
	v_mul_f64 v[113:114], v[96:97], v[86:87]
	v_fma_f64 v[84:85], -v[84:85], v[113:114], v[96:97]
	v_div_fmas_f64 v[84:85], v[84:85], v[86:87], v[113:114]
	v_fma_f64 v[86:87], v[66:67], s[6:7], s[4:5]
	s_mov_b32 s4, 0x7fd755ca
	s_mov_b32 s5, 0xbdb96415
	v_div_fixup_f64 v[70:71], v[84:85], v[82:83], v[34:35]
	v_fma_f64 v[86:87], v[66:67], v[86:87], s[8:9]
	v_fma_f64 v[84:85], -v[70:71], v[80:81], v[68:69]
	v_fma_f64 v[86:87], v[66:67], v[86:87], s[4:5]
	s_mov_b32 s4, 0x5d066201
	s_mov_b32 s5, 0x3dfaec97
	v_fma_f64 v[86:87], v[66:67], v[86:87], s[4:5]
	s_mov_b32 s4, 0xa2389bbe
	s_mov_b32 s5, 0x3e1c92ad
	;; [unrolled: 3-line block ×10, first 2 shown]
	v_fma_f64 v[66:67], v[66:67], v[86:87], s[4:5]
	v_add_f64 v[86:87], v[66:67], 1.0
	v_div_scale_f64 v[96:97], null, v[86:87], v[86:87], v[66:67]
	v_rcp_f64_e32 v[113:114], v[96:97]
	v_fma_f64 v[115:116], -v[96:97], v[113:114], 1.0
	v_fma_f64 v[113:114], v[113:114], v[115:116], v[113:114]
	v_fma_f64 v[115:116], -v[96:97], v[113:114], 1.0
	v_fma_f64 v[113:114], v[113:114], v[115:116], v[113:114]
	v_div_scale_f64 v[115:116], vcc_lo, v[66:67], v[86:87], v[66:67]
	v_mul_f64 v[117:118], v[115:116], v[113:114]
	v_fma_f64 v[96:97], -v[96:97], v[117:118], v[115:116]
	v_div_fmas_f64 v[96:97], v[96:97], v[113:114], v[117:118]
	v_div_fixup_f64 v[82:83], v[96:97], v[86:87], v[66:67]
	v_fma_f64 v[68:69], v[82:83], v[80:81], -v[68:69]
	v_add_f64 v[80:81], v[82:83], -v[70:71]
	v_add_f64 v[82:83], v[82:83], -v[14:15]
	;; [unrolled: 1-line block ×3, first 2 shown]
	v_mul_f64 v[82:83], v[80:81], v[82:83]
	v_mul_f64 v[14:15], v[14:15], v[80:81]
	v_div_scale_f64 v[86:87], null, v[82:83], v[82:83], v[84:85]
	v_div_scale_f64 v[70:71], null, v[14:15], v[14:15], v[68:69]
	v_rcp_f64_e32 v[96:97], v[86:87]
	v_rcp_f64_e32 v[80:81], v[70:71]
	v_fma_f64 v[113:114], -v[86:87], v[96:97], 1.0
	v_fma_f64 v[96:97], v[96:97], v[113:114], v[96:97]
	v_fma_f64 v[113:114], -v[86:87], v[96:97], 1.0
	v_fma_f64 v[96:97], v[96:97], v[113:114], v[96:97]
	v_div_scale_f64 v[113:114], vcc_lo, v[84:85], v[82:83], v[84:85]
	v_mul_f64 v[115:116], v[113:114], v[96:97]
	v_fma_f64 v[86:87], -v[86:87], v[115:116], v[113:114]
	v_div_fmas_f64 v[86:87], v[86:87], v[96:97], v[115:116]
	v_fma_f64 v[96:97], -v[70:71], v[80:81], 1.0
	v_fma_f64 v[80:81], v[80:81], v[96:97], v[80:81]
	v_fma_f64 v[96:97], -v[70:71], v[80:81], 1.0
	v_fma_f64 v[80:81], v[80:81], v[96:97], v[80:81]
	v_div_scale_f64 v[96:97], vcc_lo, v[68:69], v[14:15], v[68:69]
	v_mul_f64 v[113:114], v[96:97], v[80:81]
	v_fma_f64 v[70:71], -v[70:71], v[113:114], v[96:97]
	v_div_fmas_f64 v[70:71], v[70:71], v[80:81], v[113:114]
	v_div_fixup_f64 v[70:71], v[70:71], v[14:15], v[68:69]
	v_div_fixup_f64 v[68:69], v[86:87], v[82:83], v[84:85]
	v_add_f64 v[14:15], v[30:31], -v[70:71]
	v_add_f64 v[30:31], v[14:15], -v[68:69]
.LBB0_150:
	s_or_b32 exec_lo, exec_lo, s13
                                        ; implicit-def: $vgpr14_vgpr15
                                        ; implicit-def: $vgpr80_vgpr81
.LBB0_151:
	s_andn2_saveexec_b32 s4, s12
	s_cbranch_execz .LBB0_153
; %bb.152:
	v_add_f64 v[14:15], 0xc01e0000, v[14:15]
	s_mov_b32 s6, 0x9bb322b7
	s_mov_b32 s8, 0xc8096513
	;; [unrolled: 1-line block ×6, first 2 shown]
	v_add_f64 v[66:67], v[80:81], -v[30:31]
	v_fma_f64 v[18:19], v[14:15], s[8:9], s[6:7]
	s_mov_b32 s6, 0xf344837f
	s_mov_b32 s8, 0x8b28e7d9
	;; [unrolled: 1-line block ×4, first 2 shown]
	v_fma_f64 v[34:35], v[14:15], s[12:13], s[8:9]
	s_mov_b32 s8, 0x73e17dd6
	s_mov_b32 s9, 0xbd8390c1
	v_fma_f64 v[18:19], v[14:15], v[18:19], s[6:7]
	s_mov_b32 s6, 0x704323a2
	s_mov_b32 s7, 0xbd33e286
	;; [unrolled: 3-line block ×24, first 2 shown]
	v_fma_f64 v[34:35], v[14:15], v[34:35], s[8:9]
	v_fma_f64 v[18:19], v[14:15], v[18:19], s[6:7]
	v_add_f64 v[14:15], v[34:35], 1.0
	v_fma_f64 v[66:67], v[66:67], v[18:19], v[80:81]
	v_add_f64 v[68:69], v[34:35], -v[18:19]
	v_mul_f64 v[14:15], v[14:15], v[66:67]
	v_div_scale_f64 v[66:67], null, v[68:69], v[68:69], v[14:15]
	v_rcp_f64_e32 v[70:71], v[66:67]
	v_fma_f64 v[80:81], -v[66:67], v[70:71], 1.0
	v_fma_f64 v[70:71], v[70:71], v[80:81], v[70:71]
	v_fma_f64 v[80:81], -v[66:67], v[70:71], 1.0
	v_fma_f64 v[70:71], v[70:71], v[80:81], v[70:71]
	v_div_scale_f64 v[80:81], vcc_lo, v[14:15], v[68:69], v[14:15]
	v_mul_f64 v[82:83], v[80:81], v[70:71]
	v_fma_f64 v[66:67], -v[66:67], v[82:83], v[80:81]
	v_div_fmas_f64 v[66:67], v[66:67], v[70:71], v[82:83]
	v_div_fixup_f64 v[70:71], v[66:67], v[68:69], v[14:15]
	v_mov_b32_e32 v68, 0
	v_mov_b32_e32 v66, 0
	;; [unrolled: 1-line block ×4, first 2 shown]
	v_add_f64 v[30:31], v[30:31], -v[70:71]
.LBB0_153:
	s_or_b32 exec_lo, exec_lo, s4
                                        ; implicit-def: $vgpr80_vgpr81
.LBB0_154:
	s_andn2_saveexec_b32 s4, s11
	s_cbranch_execz .LBB0_158
; %bb.155:
	buffer_load_dword v14, off, s[0:3], s33 offset:720 ; 4-byte Folded Reload
	v_mov_b32_e32 v68, 0
	v_mov_b32_e32 v18, 0
	;; [unrolled: 1-line block ×4, first 2 shown]
	s_mov_b32 s5, exec_lo
	s_waitcnt vmcnt(0)
	v_cmpx_eq_u32_e32 0, v14
	s_cbranch_execz .LBB0_157
; %bb.156:
	v_add_f64 v[14:15], v[30:31], -v[80:81]
	v_div_scale_f64 v[18:19], null, v[14:15], v[14:15], v[80:81]
	v_rcp_f64_e32 v[34:35], v[18:19]
	v_fma_f64 v[66:67], -v[18:19], v[34:35], 1.0
	v_fma_f64 v[34:35], v[34:35], v[66:67], v[34:35]
	v_fma_f64 v[66:67], -v[18:19], v[34:35], 1.0
	v_fma_f64 v[34:35], v[34:35], v[66:67], v[34:35]
	v_div_scale_f64 v[66:67], vcc_lo, v[80:81], v[14:15], v[80:81]
	v_mul_f64 v[70:71], v[66:67], v[34:35]
	v_fma_f64 v[18:19], -v[18:19], v[70:71], v[66:67]
	v_div_fmas_f64 v[18:19], v[18:19], v[34:35], v[70:71]
	v_div_fixup_f64 v[18:19], v[18:19], v[14:15], v[80:81]
.LBB0_157:
	s_or_b32 exec_lo, exec_lo, s5
	v_mov_b32_e32 v70, 0
	v_mov_b32_e32 v66, 0
	;; [unrolled: 1-line block ×6, first 2 shown]
.LBB0_158:
	s_or_b32 exec_lo, exec_lo, s4
.LBB0_159:
	s_or_b32 exec_lo, exec_lo, s10
                                        ; implicit-def: $vgpr14_vgpr15
.LBB0_160:
	s_andn2_saveexec_b32 s6, s18
	s_cbranch_execz .LBB0_298
; %bb.161:
	buffer_load_dword v18, off, s[0:3], s33 offset:720 ; 4-byte Folded Reload
	v_add_f64 v[80:81], v[14:15], -4.0
                                        ; implicit-def: $vgpr68_vgpr69
                                        ; implicit-def: $vgpr70_vgpr71
                                        ; implicit-def: $vgpr30_vgpr31
                                        ; implicit-def: $vgpr66_vgpr67
                                        ; implicit-def: $vgpr34_vgpr35
	s_waitcnt vmcnt(0)
	v_cmp_lt_i32_e32 vcc_lo, 0, v18
                                        ; implicit-def: $vgpr18_vgpr19
	s_and_saveexec_b32 s4, vcc_lo
	s_xor_b32 s7, exec_lo, s4
	s_cbranch_execz .LBB0_169
; %bb.162:
	buffer_load_dword v18, off, s[0:3], s33 offset:720 ; 4-byte Folded Reload
                                        ; implicit-def: $vgpr68_vgpr69
                                        ; implicit-def: $vgpr70_vgpr71
                                        ; implicit-def: $vgpr30_vgpr31
                                        ; implicit-def: $vgpr66_vgpr67
                                        ; implicit-def: $vgpr34_vgpr35
	s_waitcnt vmcnt(0)
	v_cmp_lt_i32_e32 vcc_lo, 1, v18
                                        ; implicit-def: $vgpr18_vgpr19
	s_and_saveexec_b32 s4, vcc_lo
	s_xor_b32 s8, exec_lo, s4
	s_cbranch_execz .LBB0_166
; %bb.163:
	buffer_load_dword v82, off, s[0:3], s33 offset:720 ; 4-byte Folded Reload
	v_mov_b32_e32 v68, 0
	v_mov_b32_e32 v70, 0
	v_mov_b32_e32 v30, 0
	v_mov_b32_e32 v66, 0
	v_mov_b32_e32 v34, 0
	v_mov_b32_e32 v18, 0
	v_mov_b32_e32 v69, 0
	v_mov_b32_e32 v71, 0
	v_mov_b32_e32 v31, 0
	v_mov_b32_e32 v67, 0
	v_mov_b32_e32 v35, 0
	v_mov_b32_e32 v19, 0
	s_mov_b32 s9, exec_lo
	s_waitcnt vmcnt(0)
	v_cmpx_eq_u32_e32 2, v82
	s_cbranch_execz .LBB0_165
; %bb.164:
	s_mov_b32 s4, 0x68302304
	s_mov_b32 s10, 0xfb34e0d3
	;; [unrolled: 1-line block ×4, first 2 shown]
	v_cmp_nlt_f64_e32 vcc_lo, 0x4090cc00, v[14:15]
	v_fma_f64 v[18:19], v[80:81], s[10:11], s[4:5]
	s_mov_b32 s4, 0xfad6a4de
	s_mov_b32 s5, 0x3e406d2a
	;; [unrolled: 1-line block ×4, first 2 shown]
	v_fma_f64 v[18:19], v[80:81], v[18:19], s[4:5]
	s_mov_b32 s4, 0xae32011a
	s_mov_b32 s5, 0xbe80820a
	v_fma_f64 v[18:19], v[80:81], v[18:19], s[4:5]
	s_mov_b32 s4, 0x74ee91c2
	s_mov_b32 s5, 0x3ec0fece
	v_fma_f64 v[18:19], v[80:81], v[18:19], s[4:5]
	s_mov_b32 s4, 0x735238d8
	s_mov_b32 s5, 0xbefe1967
	v_fma_f64 v[18:19], v[80:81], v[18:19], s[4:5]
	s_mov_b32 s4, 0x1683fb1e
	s_mov_b32 s5, 0x3f38450e
	v_fma_f64 v[18:19], v[80:81], v[18:19], s[4:5]
	s_mov_b32 s4, 0x4e40d91f
	s_mov_b32 s5, 0xbf713e92
	v_fma_f64 v[18:19], v[80:81], v[18:19], s[4:5]
	s_mov_b32 s4, 0xe333147e
	s_mov_b32 s5, 0x3fa1f74b
	v_fma_f64 v[18:19], v[80:81], v[18:19], s[4:5]
	s_mov_b32 s4, 0x94184e10
	s_mov_b32 s5, 0x3deb26a3
	v_fma_f64 v[30:31], v[80:81], s[10:11], s[4:5]
	s_mov_b32 s4, 0x62360679
	s_mov_b32 s5, 0x3e228d41
	s_mov_b32 s10, 0xeec8a0c9
	s_mov_b32 s11, 0xbdfafecd
	v_fma_f64 v[30:31], v[80:81], v[30:31], s[4:5]
	s_mov_b32 s4, 0x2720acbd
	s_mov_b32 s5, 0xbe755783
	v_fma_f64 v[30:31], v[80:81], v[30:31], s[4:5]
	s_mov_b32 s4, 0x2aa8aaa2
	s_mov_b32 s5, 0x3ea14801
	v_fma_f64 v[30:31], v[80:81], v[30:31], s[4:5]
	s_mov_b32 s4, 0x6e3cb6b6
	s_mov_b32 s5, 0x3ee7719c
	v_fma_f64 v[30:31], v[80:81], v[30:31], s[4:5]
	s_mov_b32 s4, 0x6eda89a4
	s_mov_b32 s5, 0xbf35df37
	v_fma_f64 v[30:31], v[80:81], v[30:31], s[4:5]
	s_mov_b32 s4, 0x5d04be24
	s_mov_b32 s5, 0x3f75bbc2
	v_fma_f64 v[30:31], v[80:81], v[30:31], s[4:5]
	s_mov_b32 s4, 0x64ba8ada
	s_mov_b32 s5, 0xbfae62e7
	v_fma_f64 v[30:31], v[80:81], v[30:31], s[4:5]
	s_mov_b32 s4, 0x3184cb0f
	s_mov_b32 s5, 0x3fdb9876
	v_fma_f64 v[34:35], v[80:81], v[30:31], s[4:5]
	s_mov_b32 s4, 0x306569a3
	s_mov_b32 s5, 0xbe31e29f
	v_fma_f64 v[30:31], v[80:81], s[10:11], s[4:5]
	s_mov_b32 s4, 0x8008685d
	s_mov_b32 s5, 0x3e67c07a
	s_mov_b32 s10, 0xecc42bc2
	s_mov_b32 s11, 0xbdba0902
	v_fma_f64 v[30:31], v[80:81], v[30:31], s[4:5]
	s_mov_b32 s4, 0x52d3e3e0
	s_mov_b32 s5, 0x3ea57e7e
	;; [unrolled: 29-line block ×3, first 2 shown]
	v_fma_f64 v[30:31], v[80:81], v[30:31], s[4:5]
	s_mov_b32 s4, 0xf90ee24
	s_mov_b32 s5, 0xbe9430f9
	v_fma_f64 v[30:31], v[80:81], v[30:31], s[4:5]
	s_mov_b32 s4, 0xf951d32b
	s_mov_b32 s5, 0x3ec4ddd8
	;; [unrolled: 3-line block ×9, first 2 shown]
	v_mul_f64 v[68:69], v[14:15], s[4:5]
	s_mov_b32 s4, 0xfefa39ef
	s_mov_b32 s5, 0xbfe62e42
	v_rndne_f64_e32 v[68:69], v[68:69]
	v_fma_f64 v[70:71], v[68:69], s[4:5], -v[14:15]
	s_mov_b32 s4, 0x3b39803f
	s_mov_b32 s5, 0xbc7abc9e
	v_add_f64 v[14:15], v[14:15], v[14:15]
	v_fma_f64 v[70:71], v[68:69], s[4:5], v[70:71]
	s_mov_b32 s4, 0xfca7ab0c
	s_mov_b32 s5, 0x3e928af3
	v_cvt_i32_f64_e32 v68, v[68:69]
	v_fma_f64 v[80:81], v[70:71], s[10:11], s[4:5]
	s_mov_b32 s4, 0x623fde64
	s_mov_b32 s5, 0x3ec71dee
	v_fma_f64 v[80:81], v[70:71], v[80:81], s[4:5]
	s_mov_b32 s4, 0x7c89e6b0
	s_mov_b32 s5, 0x3efa0199
	;; [unrolled: 3-line block ×8, first 2 shown]
	v_fma_f64 v[80:81], v[70:71], v[80:81], s[4:5]
	v_fma_f64 v[80:81], v[70:71], v[80:81], 1.0
	v_fma_f64 v[70:71], v[70:71], v[80:81], 1.0
	v_ldexp_f64 v[68:69], v[70:71], v68
	v_cndmask_b32_e32 v71, 0, v69, vcc_lo
	v_cndmask_b32_e32 v70, 0, v68, vcc_lo
	v_fma_f64 v[68:69], v[14:15], v[30:31], v[70:71]
	v_div_scale_f64 v[80:81], null, 0x40080000, 0x40080000, v[68:69]
	v_rcp_f64_e32 v[82:83], v[80:81]
	v_fma_f64 v[84:85], -v[80:81], v[82:83], 1.0
	v_fma_f64 v[82:83], v[82:83], v[84:85], v[82:83]
	v_fma_f64 v[84:85], -v[80:81], v[82:83], 1.0
	v_fma_f64 v[82:83], v[82:83], v[84:85], v[82:83]
	v_div_scale_f64 v[84:85], vcc_lo, v[68:69], 0x40080000, v[68:69]
	v_mul_f64 v[86:87], v[84:85], v[82:83]
	v_fma_f64 v[80:81], -v[80:81], v[86:87], v[84:85]
	v_div_fmas_f64 v[80:81], v[80:81], v[82:83], v[86:87]
	v_div_fixup_f64 v[68:69], v[80:81], 0x40080000, v[68:69]
	v_fma_f64 v[14:15], v[14:15], v[68:69], v[70:71]
	v_add_f64 v[70:71], v[18:19], 1.0
	v_div_scale_f64 v[80:81], null, v[70:71], v[70:71], v[18:19]
	v_rcp_f64_e32 v[82:83], v[80:81]
	v_fma_f64 v[84:85], -v[80:81], v[82:83], 1.0
	v_fma_f64 v[82:83], v[82:83], v[84:85], v[82:83]
	v_fma_f64 v[84:85], -v[80:81], v[82:83], 1.0
	v_fma_f64 v[82:83], v[82:83], v[84:85], v[82:83]
	v_div_scale_f64 v[84:85], vcc_lo, v[18:19], v[70:71], v[18:19]
	v_mul_f64 v[86:87], v[84:85], v[82:83]
	v_fma_f64 v[80:81], -v[80:81], v[86:87], v[84:85]
	v_div_fmas_f64 v[80:81], v[80:81], v[82:83], v[86:87]
	v_div_fixup_f64 v[70:71], v[80:81], v[70:71], v[18:19]
	v_add_f64 v[80:81], v[34:35], 1.0
	v_fma_f64 v[30:31], -v[70:71], v[68:69], v[30:31]
	v_div_scale_f64 v[82:83], null, v[80:81], v[80:81], v[34:35]
	v_rcp_f64_e32 v[84:85], v[82:83]
	v_fma_f64 v[86:87], -v[82:83], v[84:85], 1.0
	v_fma_f64 v[84:85], v[84:85], v[86:87], v[84:85]
	v_fma_f64 v[86:87], -v[82:83], v[84:85], 1.0
	v_fma_f64 v[84:85], v[84:85], v[86:87], v[84:85]
	v_div_scale_f64 v[86:87], vcc_lo, v[34:35], v[80:81], v[34:35]
	v_mul_f64 v[96:97], v[86:87], v[84:85]
	v_fma_f64 v[82:83], -v[82:83], v[96:97], v[86:87]
	v_div_fmas_f64 v[82:83], v[82:83], v[84:85], v[96:97]
	v_div_fixup_f64 v[80:81], v[82:83], v[80:81], v[34:35]
	v_add_f64 v[82:83], v[66:67], 1.0
	v_div_scale_f64 v[84:85], null, v[82:83], v[82:83], v[66:67]
	v_rcp_f64_e32 v[86:87], v[84:85]
	v_fma_f64 v[96:97], -v[84:85], v[86:87], 1.0
	v_fma_f64 v[86:87], v[86:87], v[96:97], v[86:87]
	v_fma_f64 v[96:97], -v[84:85], v[86:87], 1.0
	v_fma_f64 v[86:87], v[86:87], v[96:97], v[86:87]
	v_div_scale_f64 v[96:97], vcc_lo, v[66:67], v[82:83], v[66:67]
	v_mul_f64 v[113:114], v[96:97], v[86:87]
	v_fma_f64 v[84:85], -v[84:85], v[113:114], v[96:97]
	v_div_fmas_f64 v[84:85], v[84:85], v[86:87], v[113:114]
	v_div_fixup_f64 v[82:83], v[84:85], v[82:83], v[66:67]
	v_fma_f64 v[84:85], -v[70:71], v[14:15], v[68:69]
	v_add_f64 v[86:87], v[82:83], -v[80:81]
	v_add_f64 v[96:97], v[82:83], -v[70:71]
	v_fma_f64 v[68:69], -v[80:81], v[84:85], v[30:31]
	v_add_f64 v[70:71], v[80:81], -v[70:71]
	v_fma_f64 v[30:31], v[82:83], v[84:85], -v[30:31]
	v_mul_f64 v[96:97], v[86:87], v[96:97]
	v_mul_f64 v[70:71], v[86:87], v[70:71]
	v_div_scale_f64 v[113:114], null, v[96:97], v[96:97], v[68:69]
	v_div_scale_f64 v[80:81], null, v[70:71], v[70:71], v[30:31]
	v_rcp_f64_e32 v[115:116], v[113:114]
	v_rcp_f64_e32 v[82:83], v[80:81]
	v_fma_f64 v[117:118], -v[113:114], v[115:116], 1.0
	v_fma_f64 v[84:85], -v[80:81], v[82:83], 1.0
	v_fma_f64 v[115:116], v[115:116], v[117:118], v[115:116]
	v_fma_f64 v[82:83], v[82:83], v[84:85], v[82:83]
	v_fma_f64 v[117:118], -v[113:114], v[115:116], 1.0
	v_fma_f64 v[84:85], -v[80:81], v[82:83], 1.0
	v_fma_f64 v[115:116], v[115:116], v[117:118], v[115:116]
	v_div_scale_f64 v[117:118], vcc_lo, v[68:69], v[96:97], v[68:69]
	v_fma_f64 v[82:83], v[82:83], v[84:85], v[82:83]
	v_mul_f64 v[56:57], v[117:118], v[115:116]
	v_fma_f64 v[113:114], -v[113:114], v[56:57], v[117:118]
	v_div_fmas_f64 v[113:114], v[113:114], v[115:116], v[56:57]
	v_div_scale_f64 v[84:85], vcc_lo, v[30:31], v[70:71], v[30:31]
	v_div_fixup_f64 v[68:69], v[113:114], v[96:97], v[68:69]
	v_mul_f64 v[86:87], v[84:85], v[82:83]
	v_fma_f64 v[80:81], -v[80:81], v[86:87], v[84:85]
	v_div_fmas_f64 v[80:81], v[80:81], v[82:83], v[86:87]
	v_div_fixup_f64 v[70:71], v[80:81], v[70:71], v[30:31]
	v_add_f64 v[14:15], v[14:15], -v[70:71]
	v_add_f64 v[30:31], v[14:15], -v[68:69]
.LBB0_165:
	s_or_b32 exec_lo, exec_lo, s9
                                        ; implicit-def: $vgpr80_vgpr81
                                        ; implicit-def: $vgpr14_vgpr15
.LBB0_166:
	s_andn2_saveexec_b32 s4, s8
	s_cbranch_execz .LBB0_168
; %bb.167:
	s_mov_b32 s8, 0x652b82fe
	s_mov_b32 s9, 0xbff71547
	;; [unrolled: 1-line block ×3, first 2 shown]
	v_mul_f64 v[18:19], v[14:15], s[8:9]
	s_mov_b32 s8, 0xfefa39ef
	s_mov_b32 s9, 0xbfe62e42
	;; [unrolled: 1-line block ×7, first 2 shown]
	v_cmp_nlt_f64_e32 vcc_lo, 0x4090cc00, v[14:15]
	v_rndne_f64_e32 v[18:19], v[18:19]
	v_fma_f64 v[30:31], v[18:19], s[8:9], -v[14:15]
	s_mov_b32 s8, 0x3b39803f
	s_mov_b32 s9, 0xbc7abc9e
	v_cvt_i32_f64_e32 v82, v[18:19]
	v_fma_f64 v[30:31], v[18:19], s[8:9], v[30:31]
	s_mov_b32 s8, 0xfca7ab0c
	s_mov_b32 s9, 0x3e928af3
	v_fma_f64 v[34:35], v[30:31], s[10:11], s[8:9]
	s_mov_b32 s8, 0x623fde64
	s_mov_b32 s9, 0x3ec71dee
	;; [unrolled: 1-line block ×4, first 2 shown]
	v_fma_f64 v[34:35], v[30:31], v[34:35], s[8:9]
	s_mov_b32 s8, 0x140c5ae4
	s_mov_b32 s9, 0x3df6446a
	v_fma_f64 v[66:67], v[80:81], s[10:11], s[8:9]
	s_mov_b32 s8, 0x7c89e6b0
	s_mov_b32 s9, 0x3efa0199
	;; [unrolled: 1-line block ×4, first 2 shown]
	v_fma_f64 v[34:35], v[30:31], v[34:35], s[8:9]
	s_mov_b32 s8, 0xbf6cfa0d
	s_mov_b32 s9, 0xbe2f0d64
	v_fma_f64 v[66:67], v[80:81], v[66:67], s[8:9]
	s_mov_b32 s8, 0x14761f6e
	s_mov_b32 s9, 0x3f2a01a0
	;; [unrolled: 3-line block ×5, first 2 shown]
	v_fma_f64 v[68:69], v[80:81], s[10:11], s[12:13]
	v_fma_f64 v[66:67], v[80:81], v[66:67], s[8:9]
	s_mov_b32 s10, 0x11122322
	s_mov_b32 s11, 0x3f811111
	;; [unrolled: 1-line block ×6, first 2 shown]
	v_fma_f64 v[70:71], v[80:81], s[18:19], s[12:13]
	s_mov_b32 s12, 0x1eb95e12
	s_mov_b32 s13, 0xbe1dcf00
	v_fma_f64 v[34:35], v[30:31], v[34:35], s[10:11]
	s_mov_b32 s10, 0x6ff616ed
	s_mov_b32 s11, 0x3e5137a9
	v_fma_f64 v[68:69], v[80:81], v[68:69], s[10:11]
	v_fma_f64 v[66:67], v[80:81], v[66:67], s[8:9]
	s_mov_b32 s10, 0x555502a1
	s_mov_b32 s11, 0x3fa55555
	s_mov_b32 s8, 0x919cc3e
	s_mov_b32 s9, 0xbef80370
	v_fma_f64 v[70:71], v[80:81], v[70:71], s[12:13]
	s_mov_b32 s12, 0x7ea1467b
	s_mov_b32 s13, 0x3e6fd70c
	v_fma_f64 v[34:35], v[30:31], v[34:35], s[10:11]
	s_mov_b32 s10, 0xab4df8c8
	s_mov_b32 s11, 0xbe841b0a
	v_fma_f64 v[68:69], v[80:81], v[68:69], s[10:11]
	v_fma_f64 v[66:67], v[80:81], v[66:67], s[8:9]
	s_mov_b32 s10, 0x55555511
	s_mov_b32 s11, 0x3fc55555
	s_mov_b32 s8, 0xb1c0ea5b
	s_mov_b32 s9, 0x3f240235
	;; [unrolled: 12-line block ×4, first 2 shown]
	v_fma_f64 v[70:71], v[80:81], v[70:71], s[10:11]
	s_mov_b32 s10, 0xcb6ef280
	s_mov_b32 s11, 0xbf1d84fe
	v_fma_f64 v[34:35], v[30:31], v[34:35], 1.0
	v_fma_f64 v[68:69], v[80:81], v[68:69], s[12:13]
	v_fma_f64 v[66:67], v[80:81], v[66:67], s[8:9]
	s_mov_b32 s8, 0x54e3eb97
	s_mov_b32 s12, 0xcf66af5
	;; [unrolled: 1-line block ×4, first 2 shown]
	v_fma_f64 v[18:19], v[30:31], v[34:35], 1.0
	v_fma_f64 v[30:31], v[80:81], v[70:71], s[10:11]
	s_mov_b32 s10, 0x1e993e4b
	s_mov_b32 s11, 0x3f530a3d
	v_fma_f64 v[34:35], v[80:81], v[68:69], s[12:13]
	v_fma_f64 v[66:67], v[80:81], v[66:67], s[8:9]
	s_mov_b32 s8, 0x65356efd
	s_mov_b32 s12, 0x972bc943
	;; [unrolled: 1-line block ×4, first 2 shown]
	v_add_f64 v[68:69], v[14:15], v[14:15]
	v_ldexp_f64 v[18:19], v[18:19], v82
	v_fma_f64 v[14:15], v[80:81], v[30:31], s[10:11]
	s_mov_b32 s10, 0xd1130a9b
	s_mov_b32 s11, 0xbfd0aaad
	v_fma_f64 v[30:31], v[80:81], v[34:35], s[12:13]
	v_fma_f64 v[66:67], v[80:81], v[66:67], s[8:9]
	s_mov_b32 s8, 0xdad9d723
	s_mov_b32 s9, 0xbf844435
	v_cndmask_b32_e32 v19, 0, v19, vcc_lo
	v_cndmask_b32_e32 v18, 0, v18, vcc_lo
	v_fma_f64 v[14:15], v[80:81], v[14:15], s[8:9]
	s_mov_b32 s8, 0xf26810e2
	v_fma_f64 v[30:31], v[80:81], v[30:31], s[10:11]
	s_mov_b32 s10, 0x61a3cbac
	;; [unrolled: 2-line block ×3, first 2 shown]
	s_mov_b32 s11, 0x3ff1f1e1
	v_fma_f64 v[18:19], v[80:81], v[14:15], s[8:9]
	v_fma_f64 v[34:35], v[80:81], v[30:31], s[10:11]
	v_add_f64 v[14:15], v[66:67], -v[68:69]
	v_add_f64 v[30:31], v[34:35], 1.0
	v_fma_f64 v[14:15], v[18:19], v[14:15], v[66:67]
	v_add_f64 v[66:67], v[34:35], -v[18:19]
	v_mul_f64 v[14:15], v[30:31], v[14:15]
	v_div_scale_f64 v[30:31], null, v[66:67], v[66:67], v[14:15]
	v_rcp_f64_e32 v[70:71], v[30:31]
	v_fma_f64 v[80:81], -v[30:31], v[70:71], 1.0
	v_fma_f64 v[70:71], v[70:71], v[80:81], v[70:71]
	v_fma_f64 v[80:81], -v[30:31], v[70:71], 1.0
	v_fma_f64 v[70:71], v[70:71], v[80:81], v[70:71]
	v_div_scale_f64 v[80:81], vcc_lo, v[14:15], v[66:67], v[14:15]
	v_mul_f64 v[82:83], v[80:81], v[70:71]
	v_fma_f64 v[30:31], -v[30:31], v[82:83], v[80:81]
	v_div_fmas_f64 v[30:31], v[30:31], v[70:71], v[82:83]
	v_div_fixup_f64 v[70:71], v[30:31], v[66:67], v[14:15]
	v_mov_b32_e32 v66, 0
	v_mov_b32_e32 v67, 0
	v_add_f64 v[30:31], v[68:69], -v[70:71]
	v_mov_b32_e32 v68, 0
	v_mov_b32_e32 v69, 0
.LBB0_168:
	s_or_b32 exec_lo, exec_lo, s4
                                        ; implicit-def: $vgpr80_vgpr81
                                        ; implicit-def: $vgpr14_vgpr15
.LBB0_169:
	s_andn2_saveexec_b32 s4, s7
	s_cbranch_execz .LBB0_173
; %bb.170:
	buffer_load_dword v34, off, s[0:3], s33 offset:720 ; 4-byte Folded Reload
	v_mov_b32_e32 v68, 0
	v_mov_b32_e32 v30, 0
	;; [unrolled: 1-line block ×6, first 2 shown]
	s_mov_b32 s5, exec_lo
	s_waitcnt vmcnt(0)
	v_cmpx_eq_u32_e32 0, v34
	s_cbranch_execz .LBB0_172
; %bb.171:
	s_mov_b32 s8, 0x652b82fe
	s_mov_b32 s9, 0xbff71547
	;; [unrolled: 1-line block ×3, first 2 shown]
	v_mul_f64 v[18:19], v[14:15], s[8:9]
	s_mov_b32 s8, 0xfefa39ef
	s_mov_b32 s9, 0xbfe62e42
	;; [unrolled: 1-line block ×3, first 2 shown]
	v_cmp_nlt_f64_e32 vcc_lo, 0x4090cc00, v[14:15]
	v_rndne_f64_e32 v[18:19], v[18:19]
	v_fma_f64 v[30:31], v[18:19], s[8:9], -v[14:15]
	s_mov_b32 s8, 0x3b39803f
	s_mov_b32 s9, 0xbc7abc9e
	v_cvt_i32_f64_e32 v70, v[18:19]
	v_add_f64 v[14:15], v[14:15], v[14:15]
	v_fma_f64 v[30:31], v[18:19], s[8:9], v[30:31]
	s_mov_b32 s8, 0xfca7ab0c
	s_mov_b32 s9, 0x3e928af3
	v_fma_f64 v[34:35], v[30:31], s[10:11], s[8:9]
	s_mov_b32 s8, 0x623fde64
	s_mov_b32 s9, 0x3ec71dee
	;; [unrolled: 1-line block ×4, first 2 shown]
	v_fma_f64 v[34:35], v[30:31], v[34:35], s[8:9]
	s_mov_b32 s8, 0x140c5ae4
	s_mov_b32 s9, 0x3df6446a
	v_fma_f64 v[66:67], v[80:81], s[10:11], s[8:9]
	s_mov_b32 s8, 0x7c89e6b0
	s_mov_b32 s9, 0x3efa0199
	;; [unrolled: 3-line block ×16, first 2 shown]
	v_fma_f64 v[34:35], v[30:31], v[34:35], 1.0
	v_fma_f64 v[66:67], v[80:81], v[66:67], s[8:9]
	s_mov_b32 s8, 0x54e3eb97
	s_mov_b32 s9, 0xbf91f247
	v_fma_f64 v[18:19], v[30:31], v[34:35], 1.0
	v_fma_f64 v[30:31], v[80:81], v[66:67], s[8:9]
	s_mov_b32 s8, 0x65356efd
	s_mov_b32 s9, 0x3fab0ded
	v_ldexp_f64 v[18:19], v[18:19], v70
	v_fma_f64 v[34:35], v[80:81], v[30:31], s[8:9]
	v_cndmask_b32_e32 v19, 0, v19, vcc_lo
	v_cndmask_b32_e32 v18, 0, v18, vcc_lo
	v_fma_f64 v[30:31], v[14:15], v[34:35], v[18:19]
	v_add_f64 v[14:15], v[30:31], -v[34:35]
	v_div_scale_f64 v[18:19], null, v[14:15], v[14:15], v[34:35]
	v_rcp_f64_e32 v[66:67], v[18:19]
	v_fma_f64 v[70:71], -v[18:19], v[66:67], 1.0
	v_fma_f64 v[66:67], v[66:67], v[70:71], v[66:67]
	v_fma_f64 v[70:71], -v[18:19], v[66:67], 1.0
	v_fma_f64 v[66:67], v[66:67], v[70:71], v[66:67]
	v_div_scale_f64 v[70:71], vcc_lo, v[34:35], v[14:15], v[34:35]
	v_mul_f64 v[80:81], v[70:71], v[66:67]
	v_fma_f64 v[18:19], -v[18:19], v[80:81], v[70:71]
	v_div_fmas_f64 v[18:19], v[18:19], v[66:67], v[80:81]
	v_div_fixup_f64 v[18:19], v[18:19], v[14:15], v[34:35]
.LBB0_172:
	s_or_b32 exec_lo, exec_lo, s5
	v_mov_b32_e32 v70, 0
	v_mov_b32_e32 v66, 0
	;; [unrolled: 1-line block ×6, first 2 shown]
.LBB0_173:
	s_or_b32 exec_lo, exec_lo, s4
	s_or_b32 exec_lo, exec_lo, s6
                                        ; implicit-def: $vgpr14_vgpr15
.LBB0_174:
	s_andn2_saveexec_b32 s12, s17
	s_cbranch_execz .LBB0_299
.LBB0_175:
	buffer_load_dword v18, off, s[0:3], s33 offset:720 ; 4-byte Folded Reload
	v_add_f64 v[80:81], v[14:15], -2.0
                                        ; implicit-def: $vgpr68_vgpr69
                                        ; implicit-def: $vgpr70_vgpr71
                                        ; implicit-def: $vgpr30_vgpr31
                                        ; implicit-def: $vgpr66_vgpr67
                                        ; implicit-def: $vgpr34_vgpr35
	s_waitcnt vmcnt(0)
	v_cmp_lt_i32_e32 vcc_lo, 0, v18
                                        ; implicit-def: $vgpr18_vgpr19
	s_and_saveexec_b32 s4, vcc_lo
	s_xor_b32 s13, exec_lo, s4
	s_cbranch_execz .LBB0_183
; %bb.176:
	buffer_load_dword v18, off, s[0:3], s33 offset:720 ; 4-byte Folded Reload
                                        ; implicit-def: $vgpr68_vgpr69
                                        ; implicit-def: $vgpr70_vgpr71
                                        ; implicit-def: $vgpr30_vgpr31
                                        ; implicit-def: $vgpr66_vgpr67
                                        ; implicit-def: $vgpr34_vgpr35
	s_waitcnt vmcnt(0)
	v_cmp_lt_i32_e32 vcc_lo, 1, v18
                                        ; implicit-def: $vgpr18_vgpr19
	s_and_saveexec_b32 s4, vcc_lo
	s_xor_b32 s6, exec_lo, s4
	s_cbranch_execz .LBB0_180
; %bb.177:
	buffer_load_dword v82, off, s[0:3], s33 offset:720 ; 4-byte Folded Reload
	v_mov_b32_e32 v68, 0
	v_mov_b32_e32 v70, 0
	;; [unrolled: 1-line block ×12, first 2 shown]
	s_mov_b32 s7, exec_lo
	s_waitcnt vmcnt(0)
	v_cmpx_eq_u32_e32 2, v82
	s_cbranch_execz .LBB0_179
; %bb.178:
	s_mov_b32 s4, 0x6e2875fe
	s_mov_b32 s8, 0xb73671b8
	;; [unrolled: 1-line block ×4, first 2 shown]
	v_cmp_nlt_f64_e32 vcc_lo, 0x4090cc00, v[14:15]
	v_fma_f64 v[18:19], v[80:81], s[8:9], s[4:5]
	s_mov_b32 s4, 0x26273604
	s_mov_b32 s5, 0xbe06824e
	;; [unrolled: 1-line block ×4, first 2 shown]
	v_fma_f64 v[18:19], v[80:81], v[18:19], s[4:5]
	s_mov_b32 s4, 0xef7e01c8
	s_mov_b32 s5, 0x3e50d064
	v_fma_f64 v[18:19], v[80:81], v[18:19], s[4:5]
	s_mov_b32 s4, 0xd8933fe4
	s_mov_b32 s5, 0xbe9174de
	;; [unrolled: 3-line block ×9, first 2 shown]
	s_mov_b32 s8, 0xee3dd1b9
	s_mov_b32 s9, 0xbdf35823
	v_fma_f64 v[30:31], v[80:81], v[30:31], s[4:5]
	s_mov_b32 s4, 0xbfaf5e9e
	s_mov_b32 s5, 0x3eb9349d
	v_fma_f64 v[30:31], v[80:81], v[30:31], s[4:5]
	;; [unrolled: 3-line block ×8, first 2 shown]
	s_mov_b32 s4, 0xf792de63
	s_mov_b32 s5, 0x3e685aaa
	;; [unrolled: 1-line block ×4, first 2 shown]
	v_fma_f64 v[30:31], v[80:81], v[30:31], s[4:5]
	s_mov_b32 s4, 0x660cbe45
	s_mov_b32 s5, 0xbe82ebc1
	v_fma_f64 v[30:31], v[80:81], v[30:31], s[4:5]
	s_mov_b32 s4, 0x9042bedd
	s_mov_b32 s5, 0xbed9696e
	;; [unrolled: 3-line block ×9, first 2 shown]
	s_mov_b32 s8, 0x6a5dcb37
	s_mov_b32 s9, 0x3e5ade15
	v_fma_f64 v[30:31], v[80:81], v[30:31], s[4:5]
	s_mov_b32 s4, 0x7a80ab49
	s_mov_b32 s5, 0x3e89e0b7
	v_fma_f64 v[30:31], v[80:81], v[30:31], s[4:5]
	s_mov_b32 s4, 0x48445f5a
	s_mov_b32 s5, 0xbebd28ef
	v_fma_f64 v[30:31], v[80:81], v[30:31], s[4:5]
	s_mov_b32 s4, 0xd81b5e0e
	s_mov_b32 s5, 0x3eed30fb
	v_fma_f64 v[30:31], v[80:81], v[30:31], s[4:5]
	s_mov_b32 s4, 0x788e5623
	s_mov_b32 s5, 0xbf198c42
	v_fma_f64 v[30:31], v[80:81], v[30:31], s[4:5]
	s_mov_b32 s4, 0x66f5603f
	s_mov_b32 s5, 0x3f432071
	v_fma_f64 v[30:31], v[80:81], v[30:31], s[4:5]
	s_mov_b32 s4, 0xb5a64525
	s_mov_b32 s5, 0xbf67c0ce
	v_fma_f64 v[30:31], v[80:81], v[30:31], s[4:5]
	s_mov_b32 s4, 0x9539a628
	s_mov_b32 s5, 0x3f8750dc
	v_fma_f64 v[30:31], v[80:81], v[30:31], s[4:5]
	s_mov_b32 s4, 0xf5ea9c3d
	s_mov_b32 s5, 0xbfa08f7b
	v_fma_f64 v[30:31], v[80:81], v[30:31], s[4:5]
	s_mov_b32 s4, 0x1488161d
	s_mov_b32 s5, 0x3fab1b52
	v_fma_f64 v[30:31], v[80:81], v[30:31], s[4:5]
	s_mov_b32 s4, 0x652b82fe
	s_mov_b32 s5, 0xbff71547
	v_mul_f64 v[68:69], v[14:15], s[4:5]
	s_mov_b32 s4, 0xfefa39ef
	s_mov_b32 s5, 0xbfe62e42
	v_rndne_f64_e32 v[68:69], v[68:69]
	v_fma_f64 v[70:71], v[68:69], s[4:5], -v[14:15]
	s_mov_b32 s4, 0x3b39803f
	s_mov_b32 s5, 0xbc7abc9e
	v_add_f64 v[14:15], v[14:15], v[14:15]
	v_fma_f64 v[70:71], v[68:69], s[4:5], v[70:71]
	s_mov_b32 s4, 0xfca7ab0c
	s_mov_b32 s5, 0x3e928af3
	v_cvt_i32_f64_e32 v68, v[68:69]
	v_fma_f64 v[80:81], v[70:71], s[8:9], s[4:5]
	s_mov_b32 s4, 0x623fde64
	s_mov_b32 s5, 0x3ec71dee
	v_fma_f64 v[80:81], v[70:71], v[80:81], s[4:5]
	s_mov_b32 s4, 0x7c89e6b0
	s_mov_b32 s5, 0x3efa0199
	v_fma_f64 v[80:81], v[70:71], v[80:81], s[4:5]
	s_mov_b32 s4, 0x14761f6e
	s_mov_b32 s5, 0x3f2a01a0
	v_fma_f64 v[80:81], v[70:71], v[80:81], s[4:5]
	s_mov_b32 s4, 0x1852b7b0
	s_mov_b32 s5, 0x3f56c16c
	v_fma_f64 v[80:81], v[70:71], v[80:81], s[4:5]
	s_mov_b32 s4, 0x11122322
	s_mov_b32 s5, 0x3f811111
	v_fma_f64 v[80:81], v[70:71], v[80:81], s[4:5]
	s_mov_b32 s4, 0x555502a1
	s_mov_b32 s5, 0x3fa55555
	v_fma_f64 v[80:81], v[70:71], v[80:81], s[4:5]
	s_mov_b32 s4, 0x55555511
	s_mov_b32 s5, 0x3fc55555
	v_fma_f64 v[80:81], v[70:71], v[80:81], s[4:5]
	s_mov_b32 s4, 11
	s_mov_b32 s5, 0x3fe00000
	v_fma_f64 v[80:81], v[70:71], v[80:81], s[4:5]
	v_fma_f64 v[80:81], v[70:71], v[80:81], 1.0
	v_fma_f64 v[70:71], v[70:71], v[80:81], 1.0
	v_ldexp_f64 v[68:69], v[70:71], v68
	v_cndmask_b32_e32 v71, 0, v69, vcc_lo
	v_cndmask_b32_e32 v70, 0, v68, vcc_lo
	v_fma_f64 v[68:69], v[14:15], v[30:31], v[70:71]
	v_div_scale_f64 v[80:81], null, 0x40080000, 0x40080000, v[68:69]
	v_rcp_f64_e32 v[82:83], v[80:81]
	v_fma_f64 v[84:85], -v[80:81], v[82:83], 1.0
	v_fma_f64 v[82:83], v[82:83], v[84:85], v[82:83]
	v_fma_f64 v[84:85], -v[80:81], v[82:83], 1.0
	v_fma_f64 v[82:83], v[82:83], v[84:85], v[82:83]
	v_div_scale_f64 v[84:85], vcc_lo, v[68:69], 0x40080000, v[68:69]
	v_mul_f64 v[86:87], v[84:85], v[82:83]
	v_fma_f64 v[80:81], -v[80:81], v[86:87], v[84:85]
	v_div_fmas_f64 v[80:81], v[80:81], v[82:83], v[86:87]
	v_div_fixup_f64 v[68:69], v[80:81], 0x40080000, v[68:69]
	v_fma_f64 v[14:15], v[14:15], v[68:69], v[70:71]
	v_add_f64 v[70:71], v[18:19], 1.0
	v_div_scale_f64 v[80:81], null, v[70:71], v[70:71], v[18:19]
	v_rcp_f64_e32 v[82:83], v[80:81]
	v_fma_f64 v[84:85], -v[80:81], v[82:83], 1.0
	v_fma_f64 v[82:83], v[82:83], v[84:85], v[82:83]
	v_fma_f64 v[84:85], -v[80:81], v[82:83], 1.0
	v_fma_f64 v[82:83], v[82:83], v[84:85], v[82:83]
	v_div_scale_f64 v[84:85], vcc_lo, v[18:19], v[70:71], v[18:19]
	v_mul_f64 v[86:87], v[84:85], v[82:83]
	v_fma_f64 v[80:81], -v[80:81], v[86:87], v[84:85]
	v_div_fmas_f64 v[80:81], v[80:81], v[82:83], v[86:87]
	v_div_fixup_f64 v[70:71], v[80:81], v[70:71], v[18:19]
	v_add_f64 v[80:81], v[34:35], 1.0
	v_fma_f64 v[30:31], -v[70:71], v[68:69], v[30:31]
	v_div_scale_f64 v[82:83], null, v[80:81], v[80:81], v[34:35]
	v_rcp_f64_e32 v[84:85], v[82:83]
	v_fma_f64 v[86:87], -v[82:83], v[84:85], 1.0
	v_fma_f64 v[84:85], v[84:85], v[86:87], v[84:85]
	v_fma_f64 v[86:87], -v[82:83], v[84:85], 1.0
	v_fma_f64 v[84:85], v[84:85], v[86:87], v[84:85]
	v_div_scale_f64 v[86:87], vcc_lo, v[34:35], v[80:81], v[34:35]
	v_mul_f64 v[96:97], v[86:87], v[84:85]
	v_fma_f64 v[82:83], -v[82:83], v[96:97], v[86:87]
	v_div_fmas_f64 v[82:83], v[82:83], v[84:85], v[96:97]
	v_div_fixup_f64 v[80:81], v[82:83], v[80:81], v[34:35]
	v_add_f64 v[82:83], v[66:67], 1.0
	v_div_scale_f64 v[84:85], null, v[82:83], v[82:83], v[66:67]
	v_rcp_f64_e32 v[86:87], v[84:85]
	v_fma_f64 v[96:97], -v[84:85], v[86:87], 1.0
	v_fma_f64 v[86:87], v[86:87], v[96:97], v[86:87]
	v_fma_f64 v[96:97], -v[84:85], v[86:87], 1.0
	v_fma_f64 v[86:87], v[86:87], v[96:97], v[86:87]
	v_div_scale_f64 v[96:97], vcc_lo, v[66:67], v[82:83], v[66:67]
	v_mul_f64 v[113:114], v[96:97], v[86:87]
	v_fma_f64 v[84:85], -v[84:85], v[113:114], v[96:97]
	v_div_fmas_f64 v[84:85], v[84:85], v[86:87], v[113:114]
	v_div_fixup_f64 v[82:83], v[84:85], v[82:83], v[66:67]
	v_fma_f64 v[84:85], -v[70:71], v[14:15], v[68:69]
	v_add_f64 v[86:87], v[82:83], -v[80:81]
	v_add_f64 v[96:97], v[82:83], -v[70:71]
	v_fma_f64 v[68:69], -v[80:81], v[84:85], v[30:31]
	v_add_f64 v[70:71], v[80:81], -v[70:71]
	v_fma_f64 v[30:31], v[82:83], v[84:85], -v[30:31]
	v_mul_f64 v[96:97], v[86:87], v[96:97]
	v_mul_f64 v[70:71], v[86:87], v[70:71]
	v_div_scale_f64 v[113:114], null, v[96:97], v[96:97], v[68:69]
	v_div_scale_f64 v[80:81], null, v[70:71], v[70:71], v[30:31]
	v_rcp_f64_e32 v[115:116], v[113:114]
	v_rcp_f64_e32 v[82:83], v[80:81]
	v_fma_f64 v[117:118], -v[113:114], v[115:116], 1.0
	v_fma_f64 v[84:85], -v[80:81], v[82:83], 1.0
	v_fma_f64 v[115:116], v[115:116], v[117:118], v[115:116]
	v_fma_f64 v[82:83], v[82:83], v[84:85], v[82:83]
	v_fma_f64 v[117:118], -v[113:114], v[115:116], 1.0
	v_fma_f64 v[84:85], -v[80:81], v[82:83], 1.0
	v_fma_f64 v[115:116], v[115:116], v[117:118], v[115:116]
	v_div_scale_f64 v[117:118], vcc_lo, v[68:69], v[96:97], v[68:69]
	v_fma_f64 v[82:83], v[82:83], v[84:85], v[82:83]
	v_mul_f64 v[56:57], v[117:118], v[115:116]
	v_fma_f64 v[113:114], -v[113:114], v[56:57], v[117:118]
	v_div_fmas_f64 v[113:114], v[113:114], v[115:116], v[56:57]
	v_div_scale_f64 v[84:85], vcc_lo, v[30:31], v[70:71], v[30:31]
	v_div_fixup_f64 v[68:69], v[113:114], v[96:97], v[68:69]
	v_mul_f64 v[86:87], v[84:85], v[82:83]
	v_fma_f64 v[80:81], -v[80:81], v[86:87], v[84:85]
	v_div_fmas_f64 v[80:81], v[80:81], v[82:83], v[86:87]
	v_div_fixup_f64 v[70:71], v[80:81], v[70:71], v[30:31]
	v_add_f64 v[14:15], v[14:15], -v[70:71]
	v_add_f64 v[30:31], v[14:15], -v[68:69]
.LBB0_179:
	s_or_b32 exec_lo, exec_lo, s7
                                        ; implicit-def: $vgpr80_vgpr81
                                        ; implicit-def: $vgpr14_vgpr15
.LBB0_180:
	s_andn2_saveexec_b32 s17, s6
	s_cbranch_execz .LBB0_182
; %bb.181:
	s_mov_b32 s4, 0x652b82fe
	s_mov_b32 s5, 0xbff71547
	;; [unrolled: 1-line block ×3, first 2 shown]
	v_mul_f64 v[18:19], v[14:15], s[4:5]
	s_mov_b32 s4, 0xfefa39ef
	s_mov_b32 s5, 0xbfe62e42
	;; [unrolled: 1-line block ×9, first 2 shown]
	v_cmp_nlt_f64_e32 vcc_lo, 0x4090cc00, v[14:15]
	v_fma_f64 v[68:69], v[80:81], s[10:11], s[8:9]
	s_mov_b32 s8, 0x1125f910
	s_mov_b32 s9, 0xbe01b3ee
	v_rndne_f64_e32 v[18:19], v[18:19]
	v_fma_f64 v[68:69], v[80:81], v[68:69], s[8:9]
	s_mov_b32 s8, 0xfe46
	s_mov_b32 s9, 0xbdfa6ea4
	v_fma_f64 v[30:31], v[18:19], s[4:5], -v[14:15]
	s_mov_b32 s4, 0x3b39803f
	s_mov_b32 s5, 0xbc7abc9e
	v_cvt_i32_f64_e32 v82, v[18:19]
	v_fma_f64 v[68:69], v[80:81], v[68:69], s[8:9]
	s_mov_b32 s8, 0x94076a4f
	s_mov_b32 s9, 0x3e76be16
	v_fma_f64 v[30:31], v[18:19], s[4:5], v[30:31]
	s_mov_b32 s4, 0xfca7ab0c
	s_mov_b32 s5, 0x3e928af3
	;; [unrolled: 3-line block ×4, first 2 shown]
	s_mov_b32 s6, 0x2e6d26f8
	s_mov_b32 s7, 0xbde63969
	v_fma_f64 v[68:69], v[80:81], v[68:69], s[8:9]
	s_mov_b32 s8, 0x579331c5
	s_mov_b32 s9, 0xbf295166
	v_fma_f64 v[34:35], v[30:31], v[34:35], s[4:5]
	;; [unrolled: 3-line block ×3, first 2 shown]
	s_mov_b32 s4, 0x7c89e6b0
	s_mov_b32 s5, 0x3efa0199
	;; [unrolled: 1-line block ×4, first 2 shown]
	v_fma_f64 v[34:35], v[30:31], v[34:35], s[4:5]
	s_mov_b32 s4, 0xc75966b
	s_mov_b32 s5, 0xbe5700d5
	v_fma_f64 v[66:67], v[80:81], v[66:67], s[4:5]
	s_mov_b32 s4, 0x14761f6e
	s_mov_b32 s5, 0x3f2a01a0
	;; [unrolled: 3-line block ×5, first 2 shown]
	v_fma_f64 v[70:71], v[80:81], s[18:19], s[6:7]
	v_fma_f64 v[66:67], v[80:81], v[66:67], s[4:5]
	s_mov_b32 s6, 0x11122322
	s_mov_b32 s7, 0x3f811111
	s_mov_b32 s4, 0xcc2ea1d8
	s_mov_b32 s5, 0x3ef1082d
	v_fma_f64 v[34:35], v[30:31], v[34:35], s[6:7]
	s_mov_b32 s6, 0xdbd3a56
	s_mov_b32 s7, 0xbe542cbd
	v_fma_f64 v[70:71], v[80:81], v[70:71], s[6:7]
	v_fma_f64 v[66:67], v[80:81], v[66:67], s[4:5]
	s_mov_b32 s6, 0x555502a1
	s_mov_b32 s7, 0x3fa55555
	s_mov_b32 s4, 0xc7fe5e0
	s_mov_b32 s5, 0xbf1e9a4f
	v_fma_f64 v[34:35], v[30:31], v[34:35], s[6:7]
	s_mov_b32 s6, 0x9cefcdd4
	s_mov_b32 s7, 0xbe8729ef
	;; [unrolled: 9-line block ×5, first 2 shown]
	v_fma_f64 v[34:35], v[30:31], v[34:35], 1.0
	v_fma_f64 v[70:71], v[80:81], v[70:71], s[8:9]
	v_fma_f64 v[66:67], v[80:81], v[66:67], s[4:5]
	s_mov_b32 s4, 0x148817a2
	s_mov_b32 s8, 0xc9820700
	s_mov_b32 s5, 0xbfab1b52
	s_mov_b32 s9, 0xbf59e5b0
	v_fma_f64 v[18:19], v[30:31], v[34:35], 1.0
	v_fma_f64 v[30:31], v[80:81], v[68:69], s[6:7]
	s_mov_b32 s6, 0x43e2f7c7
	s_mov_b32 s7, 0x3f61f465
	v_fma_f64 v[34:35], v[80:81], v[70:71], s[8:9]
	v_fma_f64 v[66:67], v[80:81], v[66:67], s[4:5]
	s_mov_b32 s4, 0x7ada65b7
	s_mov_b32 s8, 0x638b14c6
	;; [unrolled: 1-line block ×4, first 2 shown]
	v_add_f64 v[68:69], v[14:15], v[14:15]
	v_ldexp_f64 v[18:19], v[18:19], v82
	v_fma_f64 v[14:15], v[80:81], v[30:31], s[6:7]
	s_mov_b32 s6, 0x9fc04e6
	s_mov_b32 s7, 0xbfdb9199
	v_fma_f64 v[30:31], v[80:81], v[34:35], s[8:9]
	v_fma_f64 v[66:67], v[80:81], v[66:67], s[4:5]
	s_mov_b32 s4, 0xa4491edf
	s_mov_b32 s5, 0xbf90b994
	v_cndmask_b32_e32 v19, 0, v19, vcc_lo
	v_cndmask_b32_e32 v18, 0, v18, vcc_lo
	v_fma_f64 v[14:15], v[80:81], v[14:15], s[4:5]
	s_mov_b32 s4, 0x1c218ec3
	v_fma_f64 v[30:31], v[80:81], v[30:31], s[6:7]
	s_mov_b32 s6, 0x52a11fb4
	;; [unrolled: 2-line block ×3, first 2 shown]
	s_mov_b32 s7, 0x3ffcdd39
	v_fma_f64 v[18:19], v[80:81], v[14:15], s[4:5]
	v_fma_f64 v[34:35], v[80:81], v[30:31], s[6:7]
	v_add_f64 v[14:15], v[66:67], -v[68:69]
	v_add_f64 v[30:31], v[34:35], 1.0
	v_fma_f64 v[14:15], v[18:19], v[14:15], v[66:67]
	v_add_f64 v[66:67], v[34:35], -v[18:19]
	v_mul_f64 v[14:15], v[30:31], v[14:15]
	v_div_scale_f64 v[30:31], null, v[66:67], v[66:67], v[14:15]
	v_rcp_f64_e32 v[70:71], v[30:31]
	v_fma_f64 v[80:81], -v[30:31], v[70:71], 1.0
	v_fma_f64 v[70:71], v[70:71], v[80:81], v[70:71]
	v_fma_f64 v[80:81], -v[30:31], v[70:71], 1.0
	v_fma_f64 v[70:71], v[70:71], v[80:81], v[70:71]
	v_div_scale_f64 v[80:81], vcc_lo, v[14:15], v[66:67], v[14:15]
	v_mul_f64 v[82:83], v[80:81], v[70:71]
	v_fma_f64 v[30:31], -v[30:31], v[82:83], v[80:81]
	v_div_fmas_f64 v[30:31], v[30:31], v[70:71], v[82:83]
	v_div_fixup_f64 v[70:71], v[30:31], v[66:67], v[14:15]
	v_mov_b32_e32 v66, 0
	v_mov_b32_e32 v67, 0
	v_add_f64 v[30:31], v[68:69], -v[70:71]
	v_mov_b32_e32 v68, 0
	v_mov_b32_e32 v69, 0
.LBB0_182:
	s_or_b32 exec_lo, exec_lo, s17
                                        ; implicit-def: $vgpr80_vgpr81
                                        ; implicit-def: $vgpr14_vgpr15
.LBB0_183:
	s_andn2_saveexec_b32 s4, s13
	s_cbranch_execz .LBB0_187
; %bb.184:
	buffer_load_dword v34, off, s[0:3], s33 offset:720 ; 4-byte Folded Reload
	v_mov_b32_e32 v68, 0
	v_mov_b32_e32 v30, 0
	;; [unrolled: 1-line block ×6, first 2 shown]
	s_mov_b32 s5, exec_lo
	s_waitcnt vmcnt(0)
	v_cmpx_eq_u32_e32 0, v34
	s_cbranch_execz .LBB0_186
; %bb.185:
	s_mov_b32 s6, 0x652b82fe
	s_mov_b32 s7, 0xbff71547
	;; [unrolled: 1-line block ×3, first 2 shown]
	v_mul_f64 v[18:19], v[14:15], s[6:7]
	s_mov_b32 s6, 0xfefa39ef
	s_mov_b32 s7, 0xbfe62e42
	;; [unrolled: 1-line block ×3, first 2 shown]
	v_cmp_nlt_f64_e32 vcc_lo, 0x4090cc00, v[14:15]
	v_rndne_f64_e32 v[18:19], v[18:19]
	v_fma_f64 v[30:31], v[18:19], s[6:7], -v[14:15]
	s_mov_b32 s6, 0x3b39803f
	s_mov_b32 s7, 0xbc7abc9e
	v_cvt_i32_f64_e32 v70, v[18:19]
	v_add_f64 v[14:15], v[14:15], v[14:15]
	v_fma_f64 v[30:31], v[18:19], s[6:7], v[30:31]
	s_mov_b32 s6, 0xfca7ab0c
	s_mov_b32 s7, 0x3e928af3
	v_fma_f64 v[34:35], v[30:31], s[8:9], s[6:7]
	s_mov_b32 s6, 0x623fde64
	s_mov_b32 s7, 0x3ec71dee
	;; [unrolled: 1-line block ×4, first 2 shown]
	v_fma_f64 v[34:35], v[30:31], v[34:35], s[6:7]
	s_mov_b32 s6, 0xa9d197ff
	s_mov_b32 s7, 0x3e20dad1
	v_fma_f64 v[66:67], v[80:81], s[8:9], s[6:7]
	s_mov_b32 s6, 0x7c89e6b0
	s_mov_b32 s7, 0x3efa0199
	;; [unrolled: 3-line block ×16, first 2 shown]
	v_fma_f64 v[34:35], v[30:31], v[34:35], 1.0
	v_fma_f64 v[66:67], v[80:81], v[66:67], s[6:7]
	s_mov_b32 s6, 0x148817a2
	s_mov_b32 s7, 0xbfab1b52
	v_fma_f64 v[18:19], v[30:31], v[34:35], 1.0
	v_fma_f64 v[30:31], v[80:81], v[66:67], s[6:7]
	s_mov_b32 s6, 0x7ada65b7
	s_mov_b32 s7, 0x3fbd9ea8
	v_ldexp_f64 v[18:19], v[18:19], v70
	v_fma_f64 v[34:35], v[80:81], v[30:31], s[6:7]
	v_cndmask_b32_e32 v19, 0, v19, vcc_lo
	v_cndmask_b32_e32 v18, 0, v18, vcc_lo
	v_fma_f64 v[30:31], v[14:15], v[34:35], v[18:19]
	v_add_f64 v[14:15], v[30:31], -v[34:35]
	v_div_scale_f64 v[18:19], null, v[14:15], v[14:15], v[34:35]
	v_rcp_f64_e32 v[66:67], v[18:19]
	v_fma_f64 v[70:71], -v[18:19], v[66:67], 1.0
	v_fma_f64 v[66:67], v[66:67], v[70:71], v[66:67]
	v_fma_f64 v[70:71], -v[18:19], v[66:67], 1.0
	v_fma_f64 v[66:67], v[66:67], v[70:71], v[66:67]
	v_div_scale_f64 v[70:71], vcc_lo, v[34:35], v[14:15], v[34:35]
	v_mul_f64 v[80:81], v[70:71], v[66:67]
	v_fma_f64 v[18:19], -v[18:19], v[80:81], v[70:71]
	v_div_fmas_f64 v[18:19], v[18:19], v[66:67], v[80:81]
	v_div_fixup_f64 v[18:19], v[18:19], v[14:15], v[34:35]
.LBB0_186:
	s_or_b32 exec_lo, exec_lo, s5
	v_mov_b32_e32 v70, 0
	v_mov_b32_e32 v66, 0
	v_mov_b32_e32 v34, 0
	v_mov_b32_e32 v71, 0
	v_mov_b32_e32 v67, 0
	v_mov_b32_e32 v35, 0
.LBB0_187:
	s_or_b32 exec_lo, exec_lo, s4
	s_or_b32 exec_lo, exec_lo, s12
                                        ; implicit-def: $vgpr14_vgpr15
.LBB0_188:
	s_andn2_saveexec_b32 s6, s16
	s_cbranch_execz .LBB0_300
.LBB0_189:
	buffer_load_dword v18, off, s[0:3], s33 offset:720 ; 4-byte Folded Reload
                                        ; implicit-def: $vgpr68_vgpr69
                                        ; implicit-def: $vgpr70_vgpr71
                                        ; implicit-def: $vgpr30_vgpr31
                                        ; implicit-def: $vgpr66_vgpr67
                                        ; implicit-def: $vgpr34_vgpr35
	s_waitcnt vmcnt(0)
	v_cmp_lt_i32_e32 vcc_lo, 0, v18
                                        ; implicit-def: $vgpr18_vgpr19
	s_and_saveexec_b32 s4, vcc_lo
	s_xor_b32 s7, exec_lo, s4
	s_cbranch_execz .LBB0_197
; %bb.190:
	buffer_load_dword v18, off, s[0:3], s33 offset:720 ; 4-byte Folded Reload
                                        ; implicit-def: $vgpr68_vgpr69
                                        ; implicit-def: $vgpr70_vgpr71
                                        ; implicit-def: $vgpr30_vgpr31
                                        ; implicit-def: $vgpr66_vgpr67
                                        ; implicit-def: $vgpr34_vgpr35
	s_waitcnt vmcnt(0)
	v_cmp_lt_i32_e32 vcc_lo, 1, v18
                                        ; implicit-def: $vgpr18_vgpr19
	s_and_saveexec_b32 s4, vcc_lo
	s_xor_b32 s8, exec_lo, s4
	s_cbranch_execz .LBB0_194
; %bb.191:
	buffer_load_dword v80, off, s[0:3], s33 offset:720 ; 4-byte Folded Reload
	v_mov_b32_e32 v68, 0
	v_mov_b32_e32 v70, 0
	;; [unrolled: 1-line block ×12, first 2 shown]
	s_mov_b32 s9, exec_lo
	s_waitcnt vmcnt(0)
	v_cmpx_eq_u32_e32 2, v80
	s_cbranch_execz .LBB0_193
; %bb.192:
	s_mov_b32 s4, 0xba084876
	s_mov_b32 s10, 0x4c050a83
	;; [unrolled: 1-line block ×4, first 2 shown]
	v_cmp_nlt_f64_e32 vcc_lo, 0x4090cc00, v[14:15]
	v_fma_f64 v[18:19], v[14:15], s[10:11], s[4:5]
	s_mov_b32 s4, 0xe61e163f
	s_mov_b32 s5, 0xbea0d040
	s_mov_b32 s10, 0xa133a864
	s_mov_b32 s11, 0xbe4bd764
	v_fma_f64 v[18:19], v[14:15], v[18:19], s[4:5]
	s_mov_b32 s4, 0x36d0827f
	s_mov_b32 s5, 0x3edfce17
	v_fma_f64 v[18:19], v[14:15], v[18:19], s[4:5]
	s_mov_b32 s4, 0x73eaaebc
	s_mov_b32 s5, 0xbf190978
	v_fma_f64 v[18:19], v[14:15], v[18:19], s[4:5]
	s_mov_b32 s4, 0x98dcd03d
	s_mov_b32 s5, 0x3f50dba5
	v_fma_f64 v[18:19], v[14:15], v[18:19], s[4:5]
	s_mov_b32 s4, 0xf2671cbe
	s_mov_b32 s5, 0xbf8305fb
	v_fma_f64 v[18:19], v[14:15], v[18:19], s[4:5]
	s_mov_b32 s4, 0x69e53f1a
	s_mov_b32 s5, 0x3faee9b9
	v_fma_f64 v[18:19], v[14:15], v[18:19], s[4:5]
	s_mov_b32 s4, 0xc3c042fd
	s_mov_b32 s5, 0x3e74cb06
	v_fma_f64 v[30:31], v[14:15], s[10:11], s[4:5]
	s_mov_b32 s4, 0xf35f5185
	s_mov_b32 s5, 0x3eba2d20
	s_mov_b32 s10, 0xed1b5c22
	s_mov_b32 s11, 0xbe43f0ae
	v_fma_f64 v[30:31], v[14:15], v[30:31], s[4:5]
	s_mov_b32 s4, 0x270e6f4
	s_mov_b32 s5, 0xbef092ad
	v_fma_f64 v[30:31], v[14:15], v[30:31], s[4:5]
	s_mov_b32 s4, 0x857e0a56
	s_mov_b32 s5, 0xbf35a7fe
	v_fma_f64 v[30:31], v[14:15], v[30:31], s[4:5]
	s_mov_b32 s4, 0xe0c1e780
	s_mov_b32 s5, 0x3f83f3f6
	v_fma_f64 v[30:31], v[14:15], v[30:31], s[4:5]
	s_mov_b32 s4, 0xa6d6b89f
	s_mov_b32 s5, 0xbfbe984a
	v_fma_f64 v[30:31], v[14:15], v[30:31], s[4:5]
	s_mov_b32 s4, 0xa78fc4a5
	s_mov_b32 s5, 0x3fe8dbbc
	v_fma_f64 v[34:35], v[14:15], v[30:31], s[4:5]
	s_mov_b32 s4, 0x2fc798c4
	s_mov_b32 s5, 0xbe9451d4
	v_fma_f64 v[30:31], v[14:15], s[10:11], s[4:5]
	s_mov_b32 s4, 0x5d760579
	s_mov_b32 s5, 0xbec5087b
	s_mov_b32 s10, 0xa4869262
	s_mov_b32 s11, 0xbe746cf1
	v_fma_f64 v[30:31], v[14:15], v[30:31], s[4:5]
	s_mov_b32 s4, 0xb111e0e6
	s_mov_b32 s5, 0xbedebb9b
	v_fma_f64 v[30:31], v[14:15], v[30:31], s[4:5]
	s_mov_b32 s4, 0x18d5e0fe
	s_mov_b32 s5, 0x3f30014a
	v_fma_f64 v[30:31], v[14:15], v[30:31], s[4:5]
	s_mov_b32 s4, 0xe27577c4
	s_mov_b32 s5, 0x3fa954e5
	v_fma_f64 v[30:31], v[14:15], v[30:31], s[4:5]
	s_mov_b32 s4, 0xc022abfe
	s_mov_b32 s5, 0xbff06696
	v_fma_f64 v[30:31], v[14:15], v[30:31], s[4:5]
	s_mov_b32 s4, 0xf83a3c3e
	s_mov_b32 s5, 0x401aa6b4
	v_fma_f64 v[66:67], v[14:15], v[30:31], s[4:5]
	s_mov_b32 s4, 0x8baa42cc
	s_mov_b32 s5, 0x3eb26142
	v_fma_f64 v[30:31], v[14:15], s[10:11], s[4:5]
	s_mov_b32 s4, 0x5d5c507f
	s_mov_b32 s5, 0xbee5b2a4
	s_mov_b32 s10, 0x6a5dcb37
	s_mov_b32 s11, 0x3e5ade15
	v_fma_f64 v[30:31], v[14:15], v[30:31], s[4:5]
	s_mov_b32 s4, 0x6aa26142
	s_mov_b32 s5, 0x3f156643
	v_fma_f64 v[30:31], v[14:15], v[30:31], s[4:5]
	s_mov_b32 s4, 0x57cb7fc3
	s_mov_b32 s5, 0xbf423418
	v_fma_f64 v[30:31], v[14:15], v[30:31], s[4:5]
	s_mov_b32 s4, 0xfdce2e7c
	s_mov_b32 s5, 0x3f6a419f
	v_fma_f64 v[30:31], v[14:15], v[30:31], s[4:5]
	s_mov_b32 s4, 0xc85d43de
	s_mov_b32 s5, 0xbf8f07c1
	v_fma_f64 v[30:31], v[14:15], v[30:31], s[4:5]
	s_mov_b32 s4, 0x1baa8d81
	s_mov_b32 s5, 0x3fac71c7
	v_fma_f64 v[30:31], v[14:15], v[30:31], s[4:5]
	s_mov_b32 s4, 0x9247a43d
	s_mov_b32 s5, 0xbfc24924
	v_fma_f64 v[30:31], v[14:15], v[30:31], s[4:5]
	s_mov_b32 s4, 0x999997a1
	s_mov_b32 s5, 0x3fc99999
	v_fma_f64 v[30:31], v[14:15], v[30:31], s[4:5]
	s_mov_b32 s4, 0x652b82fe
	s_mov_b32 s5, 0xbff71547
	v_mul_f64 v[68:69], v[14:15], s[4:5]
	s_mov_b32 s4, 0xfefa39ef
	s_mov_b32 s5, 0xbfe62e42
	v_rndne_f64_e32 v[68:69], v[68:69]
	v_fma_f64 v[70:71], v[68:69], s[4:5], -v[14:15]
	s_mov_b32 s4, 0x3b39803f
	s_mov_b32 s5, 0xbc7abc9e
	v_add_f64 v[14:15], v[14:15], v[14:15]
	v_fma_f64 v[70:71], v[68:69], s[4:5], v[70:71]
	s_mov_b32 s4, 0xfca7ab0c
	s_mov_b32 s5, 0x3e928af3
	v_cvt_i32_f64_e32 v68, v[68:69]
	v_fma_f64 v[80:81], v[70:71], s[10:11], s[4:5]
	s_mov_b32 s4, 0x623fde64
	s_mov_b32 s5, 0x3ec71dee
	v_fma_f64 v[80:81], v[70:71], v[80:81], s[4:5]
	s_mov_b32 s4, 0x7c89e6b0
	s_mov_b32 s5, 0x3efa0199
	;; [unrolled: 3-line block ×8, first 2 shown]
	v_fma_f64 v[80:81], v[70:71], v[80:81], s[4:5]
	v_fma_f64 v[80:81], v[70:71], v[80:81], 1.0
	v_fma_f64 v[70:71], v[70:71], v[80:81], 1.0
	v_ldexp_f64 v[68:69], v[70:71], v68
	v_cndmask_b32_e32 v71, 0, v69, vcc_lo
	v_cndmask_b32_e32 v70, 0, v68, vcc_lo
	v_fma_f64 v[68:69], v[14:15], v[30:31], v[70:71]
	v_div_scale_f64 v[80:81], null, 0x40080000, 0x40080000, v[68:69]
	v_rcp_f64_e32 v[82:83], v[80:81]
	v_fma_f64 v[84:85], -v[80:81], v[82:83], 1.0
	v_fma_f64 v[82:83], v[82:83], v[84:85], v[82:83]
	v_fma_f64 v[84:85], -v[80:81], v[82:83], 1.0
	v_fma_f64 v[82:83], v[82:83], v[84:85], v[82:83]
	v_div_scale_f64 v[84:85], vcc_lo, v[68:69], 0x40080000, v[68:69]
	v_mul_f64 v[86:87], v[84:85], v[82:83]
	v_fma_f64 v[80:81], -v[80:81], v[86:87], v[84:85]
	v_div_fmas_f64 v[80:81], v[80:81], v[82:83], v[86:87]
	v_div_fixup_f64 v[68:69], v[80:81], 0x40080000, v[68:69]
	v_fma_f64 v[14:15], v[14:15], v[68:69], v[70:71]
	v_add_f64 v[70:71], v[18:19], 1.0
	v_div_scale_f64 v[80:81], null, v[70:71], v[70:71], v[18:19]
	v_rcp_f64_e32 v[82:83], v[80:81]
	v_fma_f64 v[84:85], -v[80:81], v[82:83], 1.0
	v_fma_f64 v[82:83], v[82:83], v[84:85], v[82:83]
	v_fma_f64 v[84:85], -v[80:81], v[82:83], 1.0
	v_fma_f64 v[82:83], v[82:83], v[84:85], v[82:83]
	v_div_scale_f64 v[84:85], vcc_lo, v[18:19], v[70:71], v[18:19]
	v_mul_f64 v[86:87], v[84:85], v[82:83]
	v_fma_f64 v[80:81], -v[80:81], v[86:87], v[84:85]
	v_div_fmas_f64 v[80:81], v[80:81], v[82:83], v[86:87]
	v_div_fixup_f64 v[70:71], v[80:81], v[70:71], v[18:19]
	v_add_f64 v[80:81], v[34:35], 1.0
	v_fma_f64 v[30:31], -v[70:71], v[68:69], v[30:31]
	v_div_scale_f64 v[82:83], null, v[80:81], v[80:81], v[34:35]
	v_rcp_f64_e32 v[84:85], v[82:83]
	v_fma_f64 v[86:87], -v[82:83], v[84:85], 1.0
	v_fma_f64 v[84:85], v[84:85], v[86:87], v[84:85]
	v_fma_f64 v[86:87], -v[82:83], v[84:85], 1.0
	v_fma_f64 v[84:85], v[84:85], v[86:87], v[84:85]
	v_div_scale_f64 v[86:87], vcc_lo, v[34:35], v[80:81], v[34:35]
	v_mul_f64 v[96:97], v[86:87], v[84:85]
	v_fma_f64 v[82:83], -v[82:83], v[96:97], v[86:87]
	v_div_fmas_f64 v[82:83], v[82:83], v[84:85], v[96:97]
	v_div_fixup_f64 v[80:81], v[82:83], v[80:81], v[34:35]
	v_add_f64 v[82:83], v[66:67], 1.0
	v_div_scale_f64 v[84:85], null, v[82:83], v[82:83], v[66:67]
	v_rcp_f64_e32 v[86:87], v[84:85]
	v_fma_f64 v[96:97], -v[84:85], v[86:87], 1.0
	v_fma_f64 v[86:87], v[86:87], v[96:97], v[86:87]
	v_fma_f64 v[96:97], -v[84:85], v[86:87], 1.0
	v_fma_f64 v[86:87], v[86:87], v[96:97], v[86:87]
	v_div_scale_f64 v[96:97], vcc_lo, v[66:67], v[82:83], v[66:67]
	v_mul_f64 v[113:114], v[96:97], v[86:87]
	v_fma_f64 v[84:85], -v[84:85], v[113:114], v[96:97]
	v_div_fmas_f64 v[84:85], v[84:85], v[86:87], v[113:114]
	v_div_fixup_f64 v[82:83], v[84:85], v[82:83], v[66:67]
	v_fma_f64 v[84:85], -v[70:71], v[14:15], v[68:69]
	v_add_f64 v[86:87], v[82:83], -v[80:81]
	v_add_f64 v[96:97], v[82:83], -v[70:71]
	v_fma_f64 v[68:69], -v[80:81], v[84:85], v[30:31]
	v_add_f64 v[70:71], v[80:81], -v[70:71]
	v_fma_f64 v[30:31], v[82:83], v[84:85], -v[30:31]
	v_mul_f64 v[96:97], v[86:87], v[96:97]
	v_mul_f64 v[70:71], v[86:87], v[70:71]
	v_div_scale_f64 v[113:114], null, v[96:97], v[96:97], v[68:69]
	v_div_scale_f64 v[80:81], null, v[70:71], v[70:71], v[30:31]
	v_rcp_f64_e32 v[115:116], v[113:114]
	v_rcp_f64_e32 v[82:83], v[80:81]
	v_fma_f64 v[117:118], -v[113:114], v[115:116], 1.0
	v_fma_f64 v[84:85], -v[80:81], v[82:83], 1.0
	v_fma_f64 v[115:116], v[115:116], v[117:118], v[115:116]
	v_fma_f64 v[82:83], v[82:83], v[84:85], v[82:83]
	v_fma_f64 v[117:118], -v[113:114], v[115:116], 1.0
	v_fma_f64 v[84:85], -v[80:81], v[82:83], 1.0
	v_fma_f64 v[115:116], v[115:116], v[117:118], v[115:116]
	v_div_scale_f64 v[117:118], vcc_lo, v[68:69], v[96:97], v[68:69]
	v_fma_f64 v[82:83], v[82:83], v[84:85], v[82:83]
	v_mul_f64 v[56:57], v[117:118], v[115:116]
	v_fma_f64 v[113:114], -v[113:114], v[56:57], v[117:118]
	v_div_fmas_f64 v[113:114], v[113:114], v[115:116], v[56:57]
	v_div_scale_f64 v[84:85], vcc_lo, v[30:31], v[70:71], v[30:31]
	v_div_fixup_f64 v[68:69], v[113:114], v[96:97], v[68:69]
	v_mul_f64 v[86:87], v[84:85], v[82:83]
	v_fma_f64 v[80:81], -v[80:81], v[86:87], v[84:85]
	v_div_fmas_f64 v[80:81], v[80:81], v[82:83], v[86:87]
	v_div_fixup_f64 v[70:71], v[80:81], v[70:71], v[30:31]
	v_add_f64 v[14:15], v[14:15], -v[70:71]
	v_add_f64 v[30:31], v[14:15], -v[68:69]
.LBB0_193:
	s_or_b32 exec_lo, exec_lo, s9
                                        ; implicit-def: $vgpr14_vgpr15
.LBB0_194:
	s_andn2_saveexec_b32 s4, s8
	s_cbranch_execz .LBB0_196
; %bb.195:
	s_mov_b32 s8, 0x652b82fe
	s_mov_b32 s9, 0xbff71547
	;; [unrolled: 1-line block ×3, first 2 shown]
	v_mul_f64 v[18:19], v[14:15], s[8:9]
	s_mov_b32 s8, 0xfefa39ef
	s_mov_b32 s9, 0xbfe62e42
	;; [unrolled: 1-line block ×9, first 2 shown]
	v_fma_f64 v[68:69], v[14:15], s[16:17], s[12:13]
	s_mov_b32 s12, 0xa38c1acd
	s_mov_b32 s13, 0xbe6878e6
	v_cmp_nlt_f64_e32 vcc_lo, 0x4090cc00, v[14:15]
	v_rndne_f64_e32 v[18:19], v[18:19]
	v_fma_f64 v[68:69], v[14:15], v[68:69], s[12:13]
	s_mov_b32 s12, 0x1c6c69c7
	s_mov_b32 s13, 0xbec4876f
	v_fma_f64 v[30:31], v[18:19], s[8:9], -v[14:15]
	s_mov_b32 s8, 0x3b39803f
	s_mov_b32 s9, 0xbc7abc9e
	v_cvt_i32_f64_e32 v80, v[18:19]
	v_fma_f64 v[68:69], v[14:15], v[68:69], s[12:13]
	s_mov_b32 s12, 0xd2cf9058
	s_mov_b32 s13, 0xbf21a365
	v_fma_f64 v[30:31], v[18:19], s[8:9], v[30:31]
	s_mov_b32 s8, 0xfca7ab0c
	s_mov_b32 s9, 0x3e928af3
	;; [unrolled: 3-line block ×3, first 2 shown]
	s_mov_b32 s10, 0xf2e07f
	s_mov_b32 s11, 0xbe76731b
	v_fma_f64 v[34:35], v[30:31], v[34:35], s[8:9]
	s_mov_b32 s8, 0x7c89e6b0
	s_mov_b32 s9, 0x3efa0199
	v_fma_f64 v[34:35], v[30:31], v[34:35], s[8:9]
	s_mov_b32 s8, 0x14761f6e
	s_mov_b32 s9, 0x3f2a01a0
	v_fma_f64 v[34:35], v[30:31], v[34:35], s[8:9]
	s_mov_b32 s8, 0x9f017ad7
	s_mov_b32 s9, 0x3eb45678
	v_fma_f64 v[66:67], v[14:15], s[10:11], s[8:9]
	s_mov_b32 s8, 0x1852b7b0
	s_mov_b32 s9, 0x3f56c16c
	;; [unrolled: 1-line block ×4, first 2 shown]
	v_fma_f64 v[34:35], v[30:31], v[34:35], s[8:9]
	s_mov_b32 s8, 0xcb5eca91
	s_mov_b32 s9, 0xbee84196
	v_fma_f64 v[66:67], v[14:15], v[66:67], s[8:9]
	s_mov_b32 s8, 0x11122322
	s_mov_b32 s9, 0x3f811111
	;; [unrolled: 3-line block ×5, first 2 shown]
	v_fma_f64 v[70:71], v[14:15], s[10:11], s[18:19]
	v_fma_f64 v[66:67], v[14:15], v[66:67], s[8:9]
	s_mov_b32 s10, 0x55555511
	s_mov_b32 s11, 0x3fc55555
	s_mov_b32 s8, 0x7574e5b9
	s_mov_b32 s9, 0x3f6f07bd
	v_fma_f64 v[34:35], v[30:31], v[34:35], s[10:11]
	s_mov_b32 s10, 0x2ad55635
	s_mov_b32 s11, 0x3ebecad8
	v_fma_f64 v[70:71], v[14:15], v[70:71], s[10:11]
	v_fma_f64 v[66:67], v[14:15], v[66:67], s[8:9]
	s_mov_b32 s10, 11
	s_mov_b32 s11, 0x3fe00000
	s_mov_b32 s8, 0xa7c3ec5a
	s_mov_b32 s9, 0xbf92f684
	v_fma_f64 v[34:35], v[30:31], v[34:35], s[10:11]
	s_mov_b32 s10, 0x63a723e3
	s_mov_b32 s11, 0xbef5aa54
	v_fma_f64 v[70:71], v[14:15], v[70:71], s[10:11]
	v_fma_f64 v[66:67], v[14:15], v[66:67], s[8:9]
	s_mov_b32 s8, 0x91dc9122
	s_mov_b32 s10, 0xd07bbbb
	s_mov_b32 s9, 0x3fb24924
	s_mov_b32 s11, 0x3f08de57
	v_fma_f64 v[68:69], v[14:15], v[68:69], s[10:11]
	s_mov_b32 s10, 0x87e07b64
	s_mov_b32 s11, 0xbf4178ad
	v_fma_f64 v[34:35], v[30:31], v[34:35], 1.0
	v_fma_f64 v[70:71], v[14:15], v[70:71], s[12:13]
	v_fma_f64 v[66:67], v[14:15], v[66:67], s[8:9]
	s_mov_b32 s8, 0x9997f6a0
	s_mov_b32 s12, 0xb63088
	;; [unrolled: 1-line block ×4, first 2 shown]
	v_fma_f64 v[18:19], v[30:31], v[34:35], 1.0
	v_fma_f64 v[30:31], v[14:15], v[68:69], s[10:11]
	s_mov_b32 s10, 0x88f072ba
	s_mov_b32 s11, 0x3f72368b
	v_fma_f64 v[34:35], v[14:15], v[70:71], s[12:13]
	v_fma_f64 v[66:67], v[14:15], v[66:67], s[8:9]
	s_mov_b32 s8, 0x55555441
	s_mov_b32 s12, 0x4f02389e
	;; [unrolled: 1-line block ×4, first 2 shown]
	v_add_f64 v[68:69], v[14:15], v[14:15]
	v_ldexp_f64 v[18:19], v[18:19], v80
	v_fma_f64 v[30:31], v[14:15], v[30:31], s[10:11]
	s_mov_b32 s10, 0xb2c2b91e
	s_mov_b32 s11, 0xbfe46769
	v_fma_f64 v[34:35], v[14:15], v[34:35], s[12:13]
	v_fma_f64 v[66:67], v[14:15], v[66:67], s[8:9]
	s_mov_b32 s8, 0x524d242a
	s_mov_b32 s9, 0xbf9dbd74
	v_cndmask_b32_e32 v19, 0, v19, vcc_lo
	v_cndmask_b32_e32 v18, 0, v18, vcc_lo
	v_fma_f64 v[30:31], v[14:15], v[30:31], s[8:9]
	s_mov_b32 s8, 0x6e4ad393
	v_fma_f64 v[34:35], v[14:15], v[34:35], s[10:11]
	s_mov_b32 s10, 0xe91b528f
	;; [unrolled: 2-line block ×3, first 2 shown]
	s_mov_b32 s11, 0x4006f456
	v_fma_f64 v[18:19], v[14:15], v[30:31], s[8:9]
	v_fma_f64 v[34:35], v[14:15], v[34:35], s[10:11]
	v_add_f64 v[14:15], v[66:67], -v[68:69]
	v_add_f64 v[30:31], v[34:35], 1.0
	v_fma_f64 v[14:15], v[18:19], v[14:15], v[66:67]
	v_add_f64 v[66:67], v[34:35], -v[18:19]
	v_mul_f64 v[14:15], v[30:31], v[14:15]
	v_div_scale_f64 v[30:31], null, v[66:67], v[66:67], v[14:15]
	v_rcp_f64_e32 v[70:71], v[30:31]
	v_fma_f64 v[80:81], -v[30:31], v[70:71], 1.0
	v_fma_f64 v[70:71], v[70:71], v[80:81], v[70:71]
	v_fma_f64 v[80:81], -v[30:31], v[70:71], 1.0
	v_fma_f64 v[70:71], v[70:71], v[80:81], v[70:71]
	v_div_scale_f64 v[80:81], vcc_lo, v[14:15], v[66:67], v[14:15]
	v_mul_f64 v[82:83], v[80:81], v[70:71]
	v_fma_f64 v[30:31], -v[30:31], v[82:83], v[80:81]
	v_div_fmas_f64 v[30:31], v[30:31], v[70:71], v[82:83]
	v_div_fixup_f64 v[70:71], v[30:31], v[66:67], v[14:15]
	v_mov_b32_e32 v66, 0
	v_mov_b32_e32 v67, 0
	v_add_f64 v[30:31], v[68:69], -v[70:71]
	v_mov_b32_e32 v68, 0
	v_mov_b32_e32 v69, 0
.LBB0_196:
	s_or_b32 exec_lo, exec_lo, s4
                                        ; implicit-def: $vgpr14_vgpr15
.LBB0_197:
	s_andn2_saveexec_b32 s4, s7
	s_cbranch_execz .LBB0_201
; %bb.198:
	buffer_load_dword v34, off, s[0:3], s33 offset:720 ; 4-byte Folded Reload
	v_mov_b32_e32 v68, 0
	v_mov_b32_e32 v30, 0
	;; [unrolled: 1-line block ×6, first 2 shown]
	s_mov_b32 s5, exec_lo
	s_waitcnt vmcnt(0)
	v_cmpx_eq_u32_e32 0, v34
	s_cbranch_execz .LBB0_200
; %bb.199:
	s_mov_b32 s8, 0x652b82fe
	s_mov_b32 s9, 0xbff71547
	;; [unrolled: 1-line block ×3, first 2 shown]
	v_mul_f64 v[18:19], v[14:15], s[8:9]
	s_mov_b32 s8, 0xfefa39ef
	s_mov_b32 s9, 0xbfe62e42
	;; [unrolled: 1-line block ×3, first 2 shown]
	v_cmp_nlt_f64_e32 vcc_lo, 0x4090cc00, v[14:15]
	v_rndne_f64_e32 v[18:19], v[18:19]
	v_fma_f64 v[30:31], v[18:19], s[8:9], -v[14:15]
	s_mov_b32 s8, 0x3b39803f
	s_mov_b32 s9, 0xbc7abc9e
	v_cvt_i32_f64_e32 v70, v[18:19]
	v_fma_f64 v[30:31], v[18:19], s[8:9], v[30:31]
	s_mov_b32 s8, 0xfca7ab0c
	s_mov_b32 s9, 0x3e928af3
	v_fma_f64 v[34:35], v[30:31], s[10:11], s[8:9]
	s_mov_b32 s8, 0x623fde64
	s_mov_b32 s9, 0x3ec71dee
	;; [unrolled: 1-line block ×4, first 2 shown]
	v_fma_f64 v[34:35], v[30:31], v[34:35], s[8:9]
	s_mov_b32 s8, 0x7c89e6b0
	s_mov_b32 s9, 0x3efa0199
	v_fma_f64 v[34:35], v[30:31], v[34:35], s[8:9]
	s_mov_b32 s8, 0x14761f6e
	s_mov_b32 s9, 0x3f2a01a0
	;; [unrolled: 3-line block ×14, first 2 shown]
	v_fma_f64 v[34:35], v[30:31], v[34:35], 1.0
	v_fma_f64 v[66:67], v[14:15], v[66:67], s[8:9]
	s_mov_b32 s8, 0x9997f6a0
	s_mov_b32 s9, 0xbfc99999
	v_fma_f64 v[18:19], v[30:31], v[34:35], 1.0
	v_add_f64 v[34:35], v[14:15], v[14:15]
	v_fma_f64 v[30:31], v[14:15], v[66:67], s[8:9]
	s_mov_b32 s8, 0x55555441
	s_mov_b32 s9, 0x3fd55555
	v_ldexp_f64 v[18:19], v[18:19], v70
	v_fma_f64 v[14:15], v[14:15], v[30:31], s[8:9]
	v_cndmask_b32_e32 v19, 0, v19, vcc_lo
	v_cndmask_b32_e32 v18, 0, v18, vcc_lo
	v_fma_f64 v[30:31], v[34:35], v[14:15], v[18:19]
	v_add_f64 v[18:19], v[30:31], -v[14:15]
	v_div_scale_f64 v[34:35], null, v[18:19], v[18:19], v[14:15]
	v_rcp_f64_e32 v[66:67], v[34:35]
	v_fma_f64 v[70:71], -v[34:35], v[66:67], 1.0
	v_fma_f64 v[66:67], v[66:67], v[70:71], v[66:67]
	v_fma_f64 v[70:71], -v[34:35], v[66:67], 1.0
	v_fma_f64 v[66:67], v[66:67], v[70:71], v[66:67]
	v_div_scale_f64 v[70:71], vcc_lo, v[14:15], v[18:19], v[14:15]
	v_mul_f64 v[80:81], v[70:71], v[66:67]
	v_fma_f64 v[34:35], -v[34:35], v[80:81], v[70:71]
	v_div_fmas_f64 v[34:35], v[34:35], v[66:67], v[80:81]
	v_div_fixup_f64 v[18:19], v[34:35], v[18:19], v[14:15]
.LBB0_200:
	s_or_b32 exec_lo, exec_lo, s5
	v_mov_b32_e32 v70, 0
	v_mov_b32_e32 v66, 0
	;; [unrolled: 1-line block ×6, first 2 shown]
.LBB0_201:
	s_or_b32 exec_lo, exec_lo, s4
	s_or_b32 exec_lo, exec_lo, s6
                                        ; implicit-def: $vgpr14_vgpr15
.LBB0_202:
	s_andn2_saveexec_b32 s4, s15
	s_cbranch_execz .LBB0_216
.LBB0_203:
	buffer_load_dword v18, off, s[0:3], s33 offset:720 ; 4-byte Folded Reload
                                        ; implicit-def: $vgpr68_vgpr69
                                        ; implicit-def: $vgpr70_vgpr71
                                        ; implicit-def: $vgpr30_vgpr31
                                        ; implicit-def: $vgpr66_vgpr67
                                        ; implicit-def: $vgpr34_vgpr35
	s_waitcnt vmcnt(0)
	v_cmp_lt_i32_e32 vcc_lo, 0, v18
                                        ; implicit-def: $vgpr18_vgpr19
	s_and_saveexec_b32 s5, vcc_lo
	s_xor_b32 s5, exec_lo, s5
	s_cbranch_execz .LBB0_211
; %bb.204:
	buffer_load_dword v18, off, s[0:3], s33 offset:720 ; 4-byte Folded Reload
                                        ; implicit-def: $vgpr68_vgpr69
                                        ; implicit-def: $vgpr70_vgpr71
                                        ; implicit-def: $vgpr30_vgpr31
                                        ; implicit-def: $vgpr66_vgpr67
                                        ; implicit-def: $vgpr34_vgpr35
	s_waitcnt vmcnt(0)
	v_cmp_lt_i32_e32 vcc_lo, 1, v18
                                        ; implicit-def: $vgpr18_vgpr19
	s_and_saveexec_b32 s6, vcc_lo
	s_xor_b32 s6, exec_lo, s6
	s_cbranch_execz .LBB0_208
; %bb.205:
	buffer_load_dword v80, off, s[0:3], s33 offset:720 ; 4-byte Folded Reload
	v_mov_b32_e32 v68, 0
	v_mov_b32_e32 v70, 0
	;; [unrolled: 1-line block ×12, first 2 shown]
	s_mov_b32 s7, exec_lo
	s_waitcnt vmcnt(0)
	v_cmpx_eq_u32_e32 2, v80
	s_cbranch_execz .LBB0_207
; %bb.206:
	s_mov_b32 s8, 0x69e53e5f
	s_mov_b32 s10, 0xf2659ea3
	s_mov_b32 s12, 0xa78fc4ff
	s_mov_b32 s16, 0xa6d85c05
	s_mov_b32 s9, 0x3faee9b9
	s_mov_b32 s11, 0xbf8305fb
	s_mov_b32 s13, 0x3fe8dbbc
	s_mov_b32 s17, 0xbfbe984a
	v_fma_f64 v[18:19], v[14:15], s[10:11], s[8:9]
	v_fma_f64 v[34:35], v[14:15], s[16:17], s[12:13]
	s_mov_b32 s8, 0xf83a3cdb
	s_mov_b32 s10, 0xc024dbf4
	s_mov_b32 s12, 0x499545e7
	s_mov_b32 s16, 0x6927e217
	s_mov_b32 s9, 0x401aa6b4
	s_mov_b32 s11, 0xbff06696
	s_mov_b32 s13, 0x3fddf24d
	s_mov_b32 s17, 0xbfacebf4
	v_fma_f64 v[66:67], v[14:15], s[10:11], s[8:9]
	v_fma_f64 v[30:31], v[14:15], s[16:17], s[12:13]
	;; [unrolled: 10-line block ×3, first 2 shown]
.LBB0_207:
	s_or_b32 exec_lo, exec_lo, s7
                                        ; implicit-def: $vgpr14_vgpr15
.LBB0_208:
	s_andn2_saveexec_b32 s6, s6
	s_cbranch_execz .LBB0_210
; %bb.209:
	s_mov_b32 s8, 0x6e4ad393
	s_mov_b32 s10, 0x524bf7a9
	;; [unrolled: 1-line block ×8, first 2 shown]
	v_fma_f64 v[18:19], v[14:15], s[10:11], s[8:9]
	v_fma_f64 v[34:35], v[14:15], s[16:17], s[12:13]
	s_mov_b32 s8, 0x840c24c0
	s_mov_b32 s10, 0xf0f3516e
	;; [unrolled: 1-line block ×8, first 2 shown]
	v_fma_f64 v[30:31], v[14:15], s[10:11], s[8:9]
	v_fma_f64 v[70:71], v[14:15], s[16:17], s[12:13]
	v_mov_b32_e32 v68, 0
	v_mov_b32_e32 v66, 0
	;; [unrolled: 1-line block ×4, first 2 shown]
.LBB0_210:
	s_or_b32 exec_lo, exec_lo, s6
                                        ; implicit-def: $vgpr14_vgpr15
.LBB0_211:
	s_andn2_saveexec_b32 s5, s5
	s_cbranch_execz .LBB0_215
; %bb.212:
	buffer_load_dword v34, off, s[0:3], s33 offset:720 ; 4-byte Folded Reload
	v_mov_b32_e32 v68, 0
	v_mov_b32_e32 v30, 0
	;; [unrolled: 1-line block ×6, first 2 shown]
	s_mov_b32 s6, exec_lo
	s_waitcnt vmcnt(0)
	v_cmpx_eq_u32_e32 0, v34
	s_cbranch_execz .LBB0_214
; %bb.213:
	v_div_scale_f64 v[18:19], null, 0xc0140000, 0xc0140000, v[14:15]
	v_rcp_f64_e32 v[30:31], v[18:19]
	v_fma_f64 v[34:35], -v[18:19], v[30:31], 1.0
	v_fma_f64 v[30:31], v[30:31], v[34:35], v[30:31]
	v_fma_f64 v[34:35], -v[18:19], v[30:31], 1.0
	v_fma_f64 v[30:31], v[30:31], v[34:35], v[30:31]
	v_div_scale_f64 v[34:35], vcc_lo, v[14:15], 0xc0140000, v[14:15]
	v_mul_f64 v[66:67], v[34:35], v[30:31]
	v_fma_f64 v[18:19], -v[18:19], v[66:67], v[34:35]
	v_div_fmas_f64 v[18:19], v[18:19], v[30:31], v[66:67]
	v_div_scale_f64 v[30:31], null, 0xc0080000, 0xc0080000, v[14:15]
	v_div_fixup_f64 v[18:19], v[18:19], 0xc0140000, v[14:15]
	v_rcp_f64_e32 v[34:35], v[30:31]
	v_add_f64 v[18:19], v[18:19], 0.5
	v_fma_f64 v[66:67], -v[30:31], v[34:35], 1.0
	v_fma_f64 v[34:35], v[34:35], v[66:67], v[34:35]
	v_fma_f64 v[66:67], -v[30:31], v[34:35], 1.0
	v_fma_f64 v[34:35], v[34:35], v[66:67], v[34:35]
	v_div_scale_f64 v[66:67], vcc_lo, v[14:15], 0xc0080000, v[14:15]
	v_mul_f64 v[70:71], v[66:67], v[34:35]
	v_fma_f64 v[30:31], -v[30:31], v[70:71], v[66:67]
	v_div_fmas_f64 v[30:31], v[30:31], v[34:35], v[70:71]
	v_div_fixup_f64 v[14:15], v[30:31], 0xc0080000, v[14:15]
	v_add_f64 v[30:31], v[14:15], 1.0
.LBB0_214:
	s_or_b32 exec_lo, exec_lo, s6
	v_mov_b32_e32 v70, 0
	v_mov_b32_e32 v66, 0
	;; [unrolled: 1-line block ×6, first 2 shown]
.LBB0_215:
	s_or_b32 exec_lo, exec_lo, s5
.LBB0_216:
	s_or_b32 exec_lo, exec_lo, s4
	s_mov_b32 s4, exec_lo
	buffer_store_dword v19, off, s[0:3], s33 offset:180
	buffer_store_dword v18, off, s[0:3], s33 offset:176
	;; [unrolled: 1-line block ×4, first 2 shown]
	v_cmpx_lt_i32_e32 1, v112
	s_cbranch_execz .LBB0_218
; %bb.217:
	buffer_store_dword v35, off, s[0:3], s33 offset:188
	buffer_store_dword v34, off, s[0:3], s33 offset:184
	;; [unrolled: 1-line block ×4, first 2 shown]
.LBB0_218:
	s_or_b32 exec_lo, exec_lo, s4
	s_mov_b32 s4, exec_lo
	v_cmpx_lt_i32_e32 3, v112
	s_cbranch_execz .LBB0_220
; %bb.219:
	buffer_store_dword v67, off, s[0:3], s33 offset:196
	buffer_store_dword v66, off, s[0:3], s33 offset:192
	;; [unrolled: 1-line block ×4, first 2 shown]
.LBB0_220:
	s_or_b32 exec_lo, exec_lo, s4
.LBB0_221:
	s_or_b32 exec_lo, exec_lo, s14
	v_mov_b32_e32 v110, 0
	v_mov_b32_e32 v111, 0
	s_mov_b32 s5, exec_lo
	v_cmpx_lt_i32_e32 -2, v112
	s_cbranch_execz .LBB0_297
; %bb.222:
	s_clause 0x7
	buffer_load_dword v66, off, s[0:3], s33 offset:872
	buffer_load_dword v67, off, s[0:3], s33 offset:876
	;; [unrolled: 1-line block ×8, first 2 shown]
	buffer_store_dword v90, off, s[0:3], s33 offset:912 ; 4-byte Folded Spill
	buffer_store_dword v91, off, s[0:3], s33 offset:916 ; 4-byte Folded Spill
	;; [unrolled: 1-line block ×4, first 2 shown]
	v_div_scale_f64 v[18:19], null, v[48:49], v[48:49], 0.5
	v_writelane_b32 v124, s5, 8
	v_div_scale_f64 v[118:119], s5, 0.5, v[0:1], 0.5
	v_add_f64 v[56:57], v[20:21], -v[36:37]
	v_add_f64 v[72:73], v[12:13], -v[32:33]
	;; [unrolled: 1-line block ×5, first 2 shown]
	s_mov_b32 s69, 0xbfe62e42
	s_mov_b32 s80, 0xfefa39ef
	;; [unrolled: 1-line block ×6, first 2 shown]
	v_add_nc_u32_e32 v47, v41, v101
	v_add_nc_u32_e32 v79, v43, v98
	;; [unrolled: 1-line block ×4, first 2 shown]
                                        ; implicit-def: $vgpr125 : SGPR spill to VGPR lane
	v_mov_b32_e32 v110, 0
	v_mov_b32_e32 v111, 0
	v_rcp_f64_e32 v[80:81], v[18:19]
	v_cmp_lt_i32_e64 s15, 1, v79
	v_cmp_lt_i32_e64 s10, 0, v78
	;; [unrolled: 1-line block ×4, first 2 shown]
	s_mov_b32 s36, 0x55555555
	s_mov_b32 s66, 0x4222de17
	v_cmp_eq_f64_e64 s65, 1.0, v[76:77]
	v_cmp_eq_f64_e64 s98, 1.0, v[92:93]
	;; [unrolled: 1-line block ×3, first 2 shown]
	v_writelane_b32 v125, s13, 0
	s_mov_b32 s70, 0x3abe935a
	s_mov_b32 s82, 0x47e6c9c2
	;; [unrolled: 1-line block ×13, first 2 shown]
	v_fma_f64 v[96:97], -v[18:19], v[80:81], 1.0
	s_mov_b32 s53, 0x3fcc71c7
	s_mov_b32 s35, 0x3fd24924
	;; [unrolled: 1-line block ×6, first 2 shown]
	v_fma_f64 v[80:81], v[80:81], v[96:97], v[80:81]
	v_fma_f64 v[96:97], -v[18:19], v[80:81], 1.0
	v_fma_f64 v[80:81], v[80:81], v[96:97], v[80:81]
	s_waitcnt vmcnt(2)
	v_mul_f64 v[34:35], v[68:69], v[66:67]
	s_clause 0x3
	buffer_load_dword v66, off, s[0:3], s33 offset:856
	buffer_load_dword v67, off, s[0:3], s33 offset:860
	;; [unrolled: 1-line block ×4, first 2 shown]
	v_div_scale_f64 v[14:15], null, v[0:1], v[0:1], v[34:35]
	v_div_scale_f64 v[116:117], vcc_lo, v[34:35], v[0:1], v[34:35]
	s_waitcnt vmcnt(4)
	v_rcp_f64_e32 v[70:71], v[14:15]
	v_fma_f64 v[86:87], -v[14:15], v[70:71], 1.0
	v_fma_f64 v[70:71], v[70:71], v[86:87], v[70:71]
	v_fma_f64 v[86:87], -v[14:15], v[70:71], 1.0
	v_fma_f64 v[70:71], v[70:71], v[86:87], v[70:71]
	v_div_scale_f64 v[86:87], s4, 0.5, v[48:49], 0.5
	s_waitcnt vmcnt(2)
	v_mul_f64 v[30:31], v[66:67], -v[90:91]
	v_div_scale_f64 v[66:67], null, v[0:1], v[0:1], 0.5
	v_add_nc_u32_e32 v91, v58, v100
	v_add_nc_u32_e32 v90, v44, v103
	v_cmp_lt_i32_e64 s11, 1, v91
	v_cmp_lt_i32_e64 s12, 1, v90
	s_waitcnt vmcnt(0)
	v_div_scale_f64 v[68:69], null, v[48:49], v[48:49], v[30:31]
	v_rcp_f64_e32 v[82:83], v[66:67]
	v_div_scale_f64 v[96:97], s6, v[30:31], v[48:49], v[30:31]
	v_rcp_f64_e32 v[84:85], v[68:69]
	v_fma_f64 v[112:113], -v[66:67], v[82:83], 1.0
	v_fma_f64 v[114:115], -v[68:69], v[84:85], 1.0
	v_fma_f64 v[82:83], v[82:83], v[112:113], v[82:83]
	v_fma_f64 v[84:85], v[84:85], v[114:115], v[84:85]
	v_fma_f64 v[112:113], -v[66:67], v[82:83], 1.0
	v_fma_f64 v[114:115], -v[68:69], v[84:85], 1.0
	v_fma_f64 v[82:83], v[82:83], v[112:113], v[82:83]
	v_mul_f64 v[112:113], v[116:117], v[70:71]
	v_fma_f64 v[84:85], v[84:85], v[114:115], v[84:85]
	v_mul_f64 v[114:115], v[86:87], v[80:81]
	v_mul_f64 v[59:60], v[118:119], v[82:83]
	v_fma_f64 v[14:15], -v[14:15], v[112:113], v[116:117]
	v_mul_f64 v[61:62], v[96:97], v[84:85]
	v_fma_f64 v[18:19], -v[18:19], v[114:115], v[86:87]
	v_fma_f64 v[66:67], -v[66:67], v[59:60], v[118:119]
	v_div_fmas_f64 v[70:71], v[14:15], v[70:71], v[112:113]
	s_mov_b32 vcc_lo, s4
	v_add_f64 v[112:113], v[4:5], -v[22:23]
	v_fma_f64 v[68:69], -v[68:69], v[61:62], v[96:97]
	v_div_fmas_f64 v[14:15], v[18:19], v[80:81], v[114:115]
	s_mov_b32 vcc_lo, s5
	v_div_fixup_f64 v[34:35], v[70:71], v[0:1], v[34:35]
	v_div_fmas_f64 v[18:19], v[66:67], v[82:83], v[59:60]
	s_mov_b32 vcc_lo, s6
	s_mov_b32 s4, 0x652b82fe
	s_mov_b32 s5, 0x3ff71547
	;; [unrolled: 1-line block ×4, first 2 shown]
	v_add_f64 v[96:97], v[2:3], -v[10:11]
	v_add_f64 v[10:11], v[4:5], -v[10:11]
	;; [unrolled: 1-line block ×7, first 2 shown]
	v_div_fmas_f64 v[36:37], v[68:69], v[84:85], v[61:62]
	v_add_f64 v[60:61], v[22:23], -v[38:39]
	v_cmp_gt_f64_e32 vcc_lo, 0x10000000, v[64:65]
	v_mul_f64 v[28:29], v[72:73], v[34:35]
	v_mul_f64 v[10:11], v[0:1], v[10:11]
	;; [unrolled: 1-line block ×3, first 2 shown]
	v_div_fixup_f64 v[24:25], v[36:37], v[48:49], v[30:31]
	v_mul_f64 v[30:31], v[56:57], v[34:35]
	v_mul_f64 v[26:27], v[60:61], v[34:35]
	;; [unrolled: 1-line block ×3, first 2 shown]
	v_cndmask_b32_e64 v82, 0, 0x100, vcc_lo
	v_ldexp_f64 v[64:65], v[64:65], v82
	v_mul_f64 v[32:33], v[76:77], v[24:25]
	v_mul_f64 v[30:31], v[56:57], v[30:31]
	;; [unrolled: 1-line block ×5, first 2 shown]
	v_rsq_f64_e32 v[82:83], v[64:65]
	v_fma_f64 v[30:31], v[76:77], v[32:33], -v[30:31]
	v_fma_f64 v[26:27], v[92:93], v[34:35], -v[26:27]
	;; [unrolled: 1-line block ×3, first 2 shown]
	v_mul_f64 v[84:85], v[64:65], v[82:83]
	v_mul_f64 v[82:83], v[82:83], 0.5
	v_mul_f64 v[28:29], v[30:31], s[4:5]
	v_mul_f64 v[32:33], v[26:27], s[4:5]
	;; [unrolled: 1-line block ×3, first 2 shown]
	s_mov_b32 s4, 0xfca7ab0c
	s_mov_b32 s5, 0x3e928af3
	v_cmp_nlt_f64_e64 s8, 0x40900000, v[24:25]
	v_cmp_ngt_f64_e64 s9, 0xc090cc00, v[24:25]
	v_fma_f64 v[86:87], -v[82:83], v[84:85], 0.5
	v_rndne_f64_e32 v[28:29], v[28:29]
	v_rndne_f64_e32 v[32:33], v[32:33]
	;; [unrolled: 1-line block ×3, first 2 shown]
	v_fma_f64 v[84:85], v[84:85], v[86:87], v[84:85]
	v_fma_f64 v[82:83], v[82:83], v[86:87], v[82:83]
	;; [unrolled: 1-line block ×5, first 2 shown]
	s_mov_b32 s81, 0x3fe62e42
	v_fma_f64 v[86:87], -v[84:85], v[84:85], v[64:65]
	v_fma_f64 v[36:37], v[28:29], s[54:55], v[36:37]
	v_fma_f64 v[38:39], v[32:33], s[54:55], v[38:39]
	;; [unrolled: 1-line block ×3, first 2 shown]
	s_mov_b32 s55, 0x3c7abc9e
	v_fma_f64 v[84:85], v[86:87], v[82:83], v[84:85]
	v_cvt_i32_f64_e32 v86, v[28:29]
	v_fma_f64 v[68:69], v[36:37], s[6:7], s[4:5]
	v_fma_f64 v[70:71], v[38:39], s[6:7], s[4:5]
	;; [unrolled: 1-line block ×3, first 2 shown]
	s_mov_b32 s4, 0x623fde64
	s_mov_b32 s5, 0x3ec71dee
	v_cmp_nlt_f64_e64 s6, 0x40900000, v[26:27]
	v_cmp_ngt_f64_e64 s7, 0xc090cc00, v[26:27]
	v_fma_f64 v[68:69], v[36:37], v[68:69], s[4:5]
	v_fma_f64 v[70:71], v[38:39], v[70:71], s[4:5]
	v_fma_f64 v[80:81], v[66:67], v[80:81], s[4:5]
	s_mov_b32 s4, 0x7c89e6b0
	s_mov_b32 s5, 0x3efa0199
	v_fma_f64 v[68:69], v[36:37], v[68:69], s[4:5]
	v_fma_f64 v[70:71], v[38:39], v[70:71], s[4:5]
	v_fma_f64 v[80:81], v[66:67], v[80:81], s[4:5]
	s_mov_b32 s4, 0x14761f6e
	s_mov_b32 s5, 0x3f2a01a0
	v_fma_f64 v[68:69], v[36:37], v[68:69], s[4:5]
	v_fma_f64 v[70:71], v[38:39], v[70:71], s[4:5]
	v_fma_f64 v[80:81], v[66:67], v[80:81], s[4:5]
	s_mov_b32 s4, 0x1852b7b0
	s_mov_b32 s5, 0x3f56c16c
	v_fma_f64 v[68:69], v[36:37], v[68:69], s[4:5]
	v_fma_f64 v[70:71], v[38:39], v[70:71], s[4:5]
	v_fma_f64 v[80:81], v[66:67], v[80:81], s[4:5]
	s_mov_b32 s4, 0x11122322
	s_mov_b32 s5, 0x3f811111
	v_fma_f64 v[68:69], v[36:37], v[68:69], s[4:5]
	v_fma_f64 v[70:71], v[38:39], v[70:71], s[4:5]
	v_fma_f64 v[80:81], v[66:67], v[80:81], s[4:5]
	s_mov_b32 s4, 0x555502a1
	s_mov_b32 s5, 0x3fa55555
	v_fma_f64 v[68:69], v[36:37], v[68:69], s[4:5]
	v_fma_f64 v[70:71], v[38:39], v[70:71], s[4:5]
	v_fma_f64 v[80:81], v[66:67], v[80:81], s[4:5]
	s_mov_b32 s4, 0x55555511
	s_mov_b32 s5, 0x3fc55555
	v_fma_f64 v[68:69], v[36:37], v[68:69], s[4:5]
	v_fma_f64 v[70:71], v[38:39], v[70:71], s[4:5]
	v_fma_f64 v[80:81], v[66:67], v[80:81], s[4:5]
	s_mov_b32 s4, 11
	s_mov_b32 s5, 0x3fe00000
	v_fma_f64 v[68:69], v[36:37], v[68:69], s[4:5]
	v_fma_f64 v[70:71], v[38:39], v[70:71], s[4:5]
	v_fma_f64 v[80:81], v[66:67], v[80:81], s[4:5]
	s_mov_b32 s4, 0x54442d18
	s_mov_b32 s5, 0x400921fb
	v_fma_f64 v[68:69], v[36:37], v[68:69], 1.0
	v_fma_f64 v[70:71], v[38:39], v[70:71], 1.0
	;; [unrolled: 1-line block ×4, first 2 shown]
	v_cvt_i32_f64_e32 v68, v[32:33]
	v_fma_f64 v[32:33], v[38:39], v[70:71], 1.0
	v_cvt_i32_f64_e32 v38, v[34:35]
	v_fma_f64 v[34:35], v[66:67], v[80:81], 1.0
	v_fma_f64 v[36:37], -v[84:85], v[84:85], v[64:65]
	v_ldexp_f64 v[28:29], v[28:29], v86
	v_add_f64 v[86:87], v[50:51], -v[20:21]
	v_ldexp_f64 v[32:33], v[32:33], v68
	v_ldexp_f64 v[34:35], v[34:35], v38
	v_fma_f64 v[36:37], v[36:37], v[82:83], v[84:85]
	v_cndmask_b32_e64 v38, 0, 0xffffff80, vcc_lo
	v_cmp_class_f64_e64 vcc_lo, v[64:65], 0x260
	v_add_f64 v[84:85], v[6:7], -v[8:9]
	v_add_f64 v[6:7], v[6:7], -v[20:21]
	;; [unrolled: 1-line block ×3, first 2 shown]
	v_mul_lo_u32 v83, v98, 56
	v_lshlrev_b32_e32 v82, 3, v99
	v_mul_f64 v[28:29], v[28:29], s[4:5]
	v_mul_f64 v[32:33], v[32:33], s[4:5]
	;; [unrolled: 1-line block ×3, first 2 shown]
	v_cmp_nlt_f64_e64 s4, 0x40900000, v[30:31]
	v_ldexp_f64 v[36:37], v[36:37], v38
	v_cmp_ngt_f64_e64 s5, 0xc090cc00, v[30:31]
	v_mul_f64 v[8:9], v[0:1], v[8:9]
	v_cndmask_b32_e64 v30, 0x7ff00000, v33, s6
	v_cndmask_b32_e64 v31, 0x7ff00000, v35, s8
	;; [unrolled: 1-line block ×3, first 2 shown]
	v_cndmask_b32_e32 v25, v37, v65, vcc_lo
	v_cndmask_b32_e32 v24, v36, v64, vcc_lo
	s_and_b32 vcc_lo, s5, s4
	v_cndmask_b32_e64 v31, 0, v31, s9
	v_cndmask_b32_e64 v27, 0, v29, s5
	v_cndmask_b32_e32 v26, 0, v28, vcc_lo
	s_and_b32 vcc_lo, s7, s6
	v_cndmask_b32_e64 v29, 0, v30, s7
	v_cndmask_b32_e32 v28, 0, v32, vcc_lo
	s_and_b32 vcc_lo, s9, s8
	v_div_scale_f64 v[32:33], null, v[24:25], v[24:25], v[26:27]
	v_cndmask_b32_e32 v30, 0, v34, vcc_lo
	v_div_scale_f64 v[34:35], null, v[24:25], v[24:25], v[28:29]
	v_div_scale_f64 v[20:21], vcc_lo, v[26:27], v[24:25], v[26:27]
	v_div_scale_f64 v[36:37], null, v[24:25], v[24:25], v[30:31]
	v_div_scale_f64 v[50:51], s4, v[28:29], v[24:25], v[28:29]
	s_lshr_b32 s8, s33, 5
	v_cmp_lt_i32_e64 s9, 1, v47
	s_addk_i32 s8, 0x130
	s_mov_b32 s6, 0
	s_or_b32 s7, s8, 8
	v_cmp_lt_i32_e64 s8, 0, v90
	v_writelane_b32 v124, s7, 9
	v_cmp_lt_i32_e64 s7, -1, v44
	v_rcp_f64_e32 v[38:39], v[32:33]
	v_writelane_b32 v124, s7, 10
	v_cmp_lt_i32_e64 s7, -1, v41
	v_rcp_f64_e32 v[64:65], v[34:35]
	v_rcp_f64_e32 v[66:67], v[36:37]
	v_writelane_b32 v124, s7, 11
	v_cmp_lt_i32_e64 s7, -1, v45
	v_writelane_b32 v124, s7, 12
	v_cmp_lt_i32_e64 s7, -1, v58
	;; [unrolled: 2-line block ×3, first 2 shown]
	v_fma_f64 v[68:69], -v[32:33], v[38:39], 1.0
	v_writelane_b32 v124, s7, 14
	v_fma_f64 v[70:71], -v[34:35], v[64:65], 1.0
	v_cmp_lt_i32_e64 s7, -1, v43
	v_fma_f64 v[80:81], -v[36:37], v[66:67], 1.0
	v_writelane_b32 v124, s7, 15
	v_cmp_lt_i32_e64 s7, 0, v47
	v_writelane_b32 v124, s9, 16
	v_cmp_lt_i32_e64 s9, 0, v91
	;; [unrolled: 2-line block ×3, first 2 shown]
	v_fma_f64 v[38:39], v[38:39], v[68:69], v[38:39]
	v_writelane_b32 v124, s15, 18
	v_fma_f64 v[64:65], v[64:65], v[70:71], v[64:65]
	v_cmp_lt_i32_e64 s15, 1, v88
	v_fma_f64 v[66:67], v[66:67], v[80:81], v[66:67]
	v_writelane_b32 v124, s7, 19
	v_writelane_b32 v125, s15, 1
	;; [unrolled: 1-line block ×3, first 2 shown]
	v_fma_f64 v[68:69], -v[32:33], v[38:39], 1.0
	v_fma_f64 v[70:71], -v[34:35], v[64:65], 1.0
	;; [unrolled: 1-line block ×3, first 2 shown]
	v_fma_f64 v[38:39], v[38:39], v[68:69], v[38:39]
	v_div_scale_f64 v[68:69], s5, v[30:31], v[24:25], v[30:31]
	v_fma_f64 v[64:65], v[64:65], v[70:71], v[64:65]
	v_mul_lo_u32 v71, v101, 56
	v_lshlrev_b32_e32 v70, 3, v103
	v_fma_f64 v[66:67], v[66:67], v[80:81], v[66:67]
	v_mul_lo_u32 v81, v100, 56
	v_lshlrev_b32_e32 v80, 3, v102
	v_mul_f64 v[16:17], v[20:21], v[38:39]
	v_mul_f64 v[22:23], v[50:51], v[64:65]
	;; [unrolled: 1-line block ×3, first 2 shown]
	v_fma_f64 v[20:21], -v[32:33], v[16:17], v[20:21]
	v_fma_f64 v[32:33], -v[34:35], v[22:23], v[50:51]
	;; [unrolled: 1-line block ×3, first 2 shown]
	v_lshrrev_b32_e64 v37, 5, s33
	v_add_nc_u32_e32 v37, 0x130, v37
	v_add3_u32 v36, v37, v70, v71
	v_div_fmas_f64 v[16:17], v[20:21], v[38:39], v[16:17]
	s_mov_b32 vcc_lo, s4
	buffer_store_dword v36, off, s[0:3], s33 offset:844 ; 4-byte Folded Spill
	v_div_fmas_f64 v[20:21], v[32:33], v[64:65], v[22:23]
	v_lshrrev_b32_e64 v33, 5, s33
	buffer_store_dword v86, off, s[0:3], s33 offset:740 ; 4-byte Folded Spill
	buffer_store_dword v87, off, s[0:3], s33 offset:744 ; 4-byte Folded Spill
	;; [unrolled: 1-line block ×6, first 2 shown]
	s_and_b32 s4, s7, s8
	v_add_nc_u32_e32 v33, 0x130, v33
	v_writelane_b32 v124, s4, 21
	s_and_b32 s4, s9, s10
	s_mov_b32 vcc_lo, s5
	v_add3_u32 v32, v33, v80, v81
	v_lshrrev_b32_e64 v33, 5, s33
	v_writelane_b32 v124, s9, 22
	v_div_fmas_f64 v[22:23], v[34:35], v[66:67], v[52:53]
	buffer_store_dword v32, off, s[0:3], s33 offset:848 ; 4-byte Folded Spill
	v_add_nc_u32_e32 v33, 0x130, v33
	v_writelane_b32 v124, s10, 23
	v_add3_u32 v32, v33, v82, v83
	v_writelane_b32 v124, s4, 24
	s_and_b32 s4, s11, s14
	buffer_store_dword v32, off, s[0:3], s33 offset:852 ; 4-byte Folded Spill
	buffer_store_dword v84, off, s[0:3], s33 offset:732 ; 4-byte Folded Spill
	;; [unrolled: 1-line block ×3, first 2 shown]
	v_writelane_b32 v124, s11, 25
	v_writelane_b32 v124, s14, 26
	v_writelane_b32 v124, s4, 27
	v_cmp_eq_f64_e64 s4, 1.0, v[56:57]
	v_writelane_b32 v124, s4, 28
	v_cmp_eq_f64_e64 s4, 1.0, v[60:61]
	v_writelane_b32 v124, s4, 29
	;; [unrolled: 2-line block ×3, first 2 shown]
	s_mov_b32 s4, 0
	v_writelane_b32 v124, s12, 31
	v_mul_f64 v[36:37], v[0:1], v[86:87]
	v_mul_f64 v[50:51], v[0:1], v[112:113]
	;; [unrolled: 1-line block ×3, first 2 shown]
	v_div_fixup_f64 v[0:1], v[18:19], v[0:1], 0.5
	v_fma_f64 v[6:7], v[48:49], v[6:7], v[36:37]
	v_fma_f64 v[2:3], v[48:49], v[2:3], v[50:51]
	;; [unrolled: 1-line block ×3, first 2 shown]
	buffer_store_dword v8, off, s[0:3], s33 offset:780 ; 4-byte Folded Spill
	buffer_store_dword v9, off, s[0:3], s33 offset:784 ; 4-byte Folded Spill
	;; [unrolled: 1-line block ×6, first 2 shown]
	v_fma_f64 v[6:7], v[48:49], v[96:97], v[10:11]
	buffer_store_dword v6, off, s[0:3], s33 offset:796 ; 4-byte Folded Spill
	buffer_store_dword v7, off, s[0:3], s33 offset:800 ; 4-byte Folded Spill
	;; [unrolled: 1-line block ×6, first 2 shown]
	v_fma_f64 v[2:3], v[48:49], v[114:115], v[4:5]
	buffer_store_dword v2, off, s[0:3], s33 offset:812 ; 4-byte Folded Spill
	buffer_store_dword v3, off, s[0:3], s33 offset:816 ; 4-byte Folded Spill
	v_fma_f64 v[2:3], v[48:49], v[12:13], v[54:55]
	buffer_store_dword v2, off, s[0:3], s33 offset:820 ; 4-byte Folded Spill
	buffer_store_dword v3, off, s[0:3], s33 offset:824 ; 4-byte Folded Spill
	v_div_fixup_f64 v[2:3], v[14:15], v[48:49], 0.5
	buffer_store_dword v2, off, s[0:3], s33 offset:828 ; 4-byte Folded Spill
	buffer_store_dword v3, off, s[0:3], s33 offset:832 ; 4-byte Folded Spill
	;; [unrolled: 1-line block ×4, first 2 shown]
	v_div_fixup_f64 v[0:1], v[16:17], v[24:25], v[26:27]
	buffer_store_dword v0, off, s[0:3], s33 offset:696 ; 4-byte Folded Spill
	buffer_store_dword v1, off, s[0:3], s33 offset:700 ; 4-byte Folded Spill
	v_div_fixup_f64 v[0:1], v[20:21], v[24:25], v[28:29]
	buffer_store_dword v0, off, s[0:3], s33 offset:704 ; 4-byte Folded Spill
	buffer_store_dword v1, off, s[0:3], s33 offset:708 ; 4-byte Folded Spill
	;; [unrolled: 3-line block ×3, first 2 shown]
	s_branch .LBB0_225
.LBB0_223:                              ;   in Loop: Header=BB0_225 Depth=1
	s_or_b32 exec_lo, exec_lo, s4
	v_readlane_b32 s12, v124, 31
	v_readlane_b32 s13, v125, 0
	;; [unrolled: 1-line block ×4, first 2 shown]
.LBB0_224:                              ;   in Loop: Header=BB0_225 Depth=1
	s_or_b32 exec_lo, exec_lo, s5
	v_readlane_b32 s4, v125, 3
	v_lshrrev_b32_e64 v0, 5, s33
	v_mul_f64 v[2:3], v[62:63], v[120:121]
	v_readlane_b32 s6, v125, 4
	v_add_nc_u32_e32 v1, s4, v0
	v_readlane_b32 s4, v125, 2
	v_add_nc_u32_e32 v1, 0xf0, v1
	s_clause 0x1
	buffer_load_dword v0, v1, s[0:3], 0 offen
	buffer_load_dword v1, v1, s[0:3], 0 offen offset:4
	v_mul_f64 v[2:3], v[2:3], v[74:75]
	s_waitcnt vmcnt(0)
	v_fma_f64 v[110:111], v[2:3], v[0:1], v[110:111]
	buffer_load_dword v0, off, s[0:3], s33 offset:720 ; 4-byte Folded Reload
	s_waitcnt vmcnt(0)
	v_cmp_eq_u32_e32 vcc_lo, s4, v0
	s_add_i32 s4, s4, 1
	s_or_b32 s6, vcc_lo, s6
	s_andn2_b32 exec_lo, exec_lo, s6
	s_cbranch_execz .LBB0_296
.LBB0_225:                              ; =>This Loop Header: Depth=1
                                        ;     Child Loop BB0_231 Depth 2
                                        ;     Child Loop BB0_234 Depth 2
                                        ;     Child Loop BB0_238 Depth 2
                                        ;       Child Loop BB0_240 Depth 3
                                        ;     Child Loop BB0_244 Depth 2
                                        ;       Child Loop BB0_246 Depth 3
                                        ;     Child Loop BB0_255 Depth 2
                                        ;     Child Loop BB0_258 Depth 2
                                        ;     Child Loop BB0_262 Depth 2
                                        ;       Child Loop BB0_264 Depth 3
                                        ;     Child Loop BB0_268 Depth 2
                                        ;       Child Loop BB0_270 Depth 3
	;; [unrolled: 6-line block ×3, first 2 shown]
	v_lshrrev_b32_e64 v0, 5, s33
	v_writelane_b32 v125, s4, 2
	s_lshl_b32 s4, s4, 3
	v_add_nc_u32_e32 v1, s4, v0
	v_writelane_b32 v125, s4, 3
	v_add_nc_u32_e32 v1, 0xb0, v1
	s_clause 0x3
	buffer_load_dword v0, v1, s[0:3], 0 offen
	buffer_load_dword v1, v1, s[0:3], 0 offen offset:4
	buffer_load_dword v20, off, s[0:3], s33 offset:724
	buffer_load_dword v21, off, s[0:3], s33 offset:728
	s_waitcnt vmcnt(2)
	v_add_f64 v[2:3], v[0:1], 1.0
	v_mul_f64 v[0:1], v[0:1], 0.5
	v_div_scale_f64 v[4:5], null, v[2:3], v[2:3], 1.0
	s_waitcnt vmcnt(0)
	v_div_scale_f64 v[6:7], null, v[20:21], v[20:21], v[0:1]
	v_div_scale_f64 v[16:17], vcc_lo, 1.0, v[2:3], 1.0
	v_rcp_f64_e32 v[8:9], v[4:5]
	v_rcp_f64_e32 v[10:11], v[6:7]
	v_fma_f64 v[12:13], -v[4:5], v[8:9], 1.0
	v_fma_f64 v[14:15], -v[6:7], v[10:11], 1.0
	v_fma_f64 v[8:9], v[8:9], v[12:13], v[8:9]
	v_fma_f64 v[10:11], v[10:11], v[14:15], v[10:11]
	v_fma_f64 v[12:13], -v[4:5], v[8:9], 1.0
	v_fma_f64 v[14:15], -v[6:7], v[10:11], 1.0
	v_fma_f64 v[8:9], v[8:9], v[12:13], v[8:9]
	v_div_scale_f64 v[12:13], s4, v[0:1], v[20:21], v[0:1]
	v_fma_f64 v[10:11], v[10:11], v[14:15], v[10:11]
	v_mul_f64 v[14:15], v[16:17], v[8:9]
	v_mul_f64 v[18:19], v[12:13], v[10:11]
	v_fma_f64 v[4:5], -v[4:5], v[14:15], v[16:17]
	v_fma_f64 v[6:7], -v[6:7], v[18:19], v[12:13]
	v_div_fmas_f64 v[4:5], v[4:5], v[8:9], v[14:15]
	s_mov_b32 vcc_lo, s4
	v_div_fmas_f64 v[6:7], v[6:7], v[10:11], v[18:19]
	v_div_fixup_f64 v[108:109], v[4:5], v[2:3], 1.0
	v_div_fixup_f64 v[0:1], v[6:7], v[20:21], v[0:1]
	v_mul_f64 v[74:75], v[0:1], v[108:109]
	s_clause 0x3
	buffer_load_dword v0, off, s[0:3], s33 offset:780
	buffer_load_dword v1, off, s[0:3], s33 offset:784
	;; [unrolled: 1-line block ×4, first 2 shown]
	s_waitcnt vmcnt(2)
	v_mul_f64 v[0:1], v[0:1], v[74:75]
	v_add_f64 v[0:1], v[0:1], v[0:1]
	s_waitcnt vmcnt(0)
	v_fma_f64 v[2:3], v[2:3], v[108:109], v[0:1]
	s_clause 0x1
	buffer_load_dword v0, off, s[0:3], s33 offset:696
	buffer_load_dword v1, off, s[0:3], s33 offset:700
	s_waitcnt vmcnt(0)
	buffer_store_dword v1, off, s[0:3], s33 offset:308
	buffer_store_dword v0, off, s[0:3], s33 offset:304
	s_mov_b32 s4, exec_lo
	v_readlane_b32 s5, v124, 19
	s_and_b32 s5, s4, s5
	s_mov_b32 exec_lo, s5
	s_cbranch_execz .LBB0_227
; %bb.226:                              ;   in Loop: Header=BB0_225 Depth=1
	s_clause 0x1
	buffer_load_dword v0, off, s[0:3], s33 offset:696
	buffer_load_dword v1, off, s[0:3], s33 offset:700
	s_waitcnt vmcnt(0)
	v_mul_f64 v[0:1], v[0:1], v[2:3]
	buffer_store_dword v1, off, s[0:3], s33 offset:364
	buffer_store_dword v0, off, s[0:3], s33 offset:360
.LBB0_227:                              ;   in Loop: Header=BB0_225 Depth=1
	v_writelane_b32 v125, s6, 4
	s_or_b32 exec_lo, exec_lo, s4
	s_clause 0x3
	buffer_load_dword v0, off, s[0:3], s33 offset:788
	buffer_load_dword v1, off, s[0:3], s33 offset:792
	;; [unrolled: 1-line block ×4, first 2 shown]
	s_waitcnt vmcnt(2)
	v_mul_f64 v[0:1], v[0:1], v[74:75]
	v_add_f64 v[0:1], v[0:1], v[0:1]
	s_waitcnt vmcnt(0)
	v_fma_f64 v[0:1], v[4:5], v[108:109], v[0:1]
	s_mov_b32 s4, exec_lo
	v_readlane_b32 s5, v124, 20
	s_and_b32 s5, s4, s5
	s_mov_b32 exec_lo, s5
	s_cbranch_execz .LBB0_229
; %bb.228:                              ;   in Loop: Header=BB0_225 Depth=1
	s_clause 0x1
	buffer_load_dword v4, off, s[0:3], s33 offset:696
	buffer_load_dword v5, off, s[0:3], s33 offset:700
	s_waitcnt vmcnt(0)
	v_mul_f64 v[4:5], v[4:5], v[0:1]
	buffer_store_dword v5, off, s[0:3], s33 offset:316
	buffer_store_dword v4, off, s[0:3], s33 offset:312
.LBB0_229:                              ;   in Loop: Header=BB0_225 Depth=1
	s_or_b32 exec_lo, exec_lo, s4
	s_clause 0x1
	buffer_load_dword v4, off, s[0:3], s33 offset:828
	buffer_load_dword v5, off, s[0:3], s33 offset:832
	s_waitcnt vmcnt(0)
	v_fma_f64 v[106:107], v[4:5], v[108:109], v[74:75]
	s_mov_b32 s4, exec_lo
	v_readlane_b32 s5, v124, 16
	s_and_b32 s5, s4, s5
	s_mov_b32 exec_lo, s5
	s_cbranch_execz .LBB0_232
; %bb.230:                              ;   in Loop: Header=BB0_225 Depth=1
	s_clause 0x1
	buffer_load_dword v4, off, s[0:3], s33 offset:360
	buffer_load_dword v5, off, s[0:3], s33 offset:364
	s_lshr_b32 s5, s33, 5
	s_mov_b32 s6, 1
	s_addk_i32 s5, 0x130
	s_mov_b32 s7, 0
	.p2align	6
.LBB0_231:                              ;   Parent Loop BB0_225 Depth=1
                                        ; =>  This Inner Loop Header: Depth=2
	v_mov_b32_e32 v10, s5
	v_cvt_f64_i32_e32 v[8:9], s6
	s_add_i32 s6, s6, 1
	s_add_i32 s5, s5, 56
	v_cmp_eq_u32_e32 vcc_lo, s6, v47
	s_clause 0x1
	buffer_load_dword v6, v10, s[0:3], 0 offen
	buffer_load_dword v7, v10, s[0:3], 0 offen offset:4
	s_or_b32 s7, vcc_lo, s7
	v_mul_f64 v[8:9], v[106:107], v[8:9]
	s_waitcnt vmcnt(0)
	v_mul_f64 v[6:7], v[6:7], v[8:9]
	v_fma_f64 v[4:5], v[2:3], v[4:5], v[6:7]
	buffer_store_dword v5, v10, s[0:3], 0 offen offset:116
	buffer_store_dword v4, v10, s[0:3], 0 offen offset:112
	s_andn2_b32 exec_lo, exec_lo, s7
	s_cbranch_execnz .LBB0_231
.LBB0_232:                              ;   in Loop: Header=BB0_225 Depth=1
	s_or_b32 exec_lo, exec_lo, s4
	s_clause 0x1
	buffer_load_dword v2, off, s[0:3], s33 offset:836
	buffer_load_dword v3, off, s[0:3], s33 offset:840
	s_waitcnt vmcnt(0)
	v_fma_f64 v[104:105], v[2:3], v[108:109], v[74:75]
	s_and_saveexec_b32 s4, s12
	s_cbranch_execz .LBB0_235
; %bb.233:                              ;   in Loop: Header=BB0_225 Depth=1
	s_clause 0x1
	buffer_load_dword v2, off, s[0:3], s33 offset:312
	buffer_load_dword v3, off, s[0:3], s33 offset:316
	s_lshr_b32 s5, s33, 5
	s_mov_b32 s6, 1
	s_addk_i32 s5, 0x130
	s_mov_b32 s7, 0
	.p2align	6
.LBB0_234:                              ;   Parent Loop BB0_225 Depth=1
                                        ; =>  This Inner Loop Header: Depth=2
	v_mov_b32_e32 v8, s5
	v_cvt_f64_i32_e32 v[6:7], s6
	s_add_i32 s6, s6, 1
	s_add_i32 s5, s5, 8
	v_cmp_eq_u32_e32 vcc_lo, s6, v90
	s_clause 0x1
	buffer_load_dword v4, v8, s[0:3], 0 offen
	buffer_load_dword v5, v8, s[0:3], 0 offen offset:4
	s_or_b32 s7, vcc_lo, s7
	v_mul_f64 v[6:7], v[104:105], v[6:7]
	s_waitcnt vmcnt(0)
	v_mul_f64 v[4:5], v[4:5], v[6:7]
	v_fma_f64 v[2:3], v[0:1], v[2:3], v[4:5]
	buffer_store_dword v3, v8, s[0:3], 0 offen offset:20
	buffer_store_dword v2, v8, s[0:3], 0 offen offset:16
	s_andn2_b32 exec_lo, exec_lo, s7
	s_cbranch_execnz .LBB0_234
.LBB0_235:                              ;   in Loop: Header=BB0_225 Depth=1
	s_or_b32 exec_lo, exec_lo, s4
	s_mov_b32 s4, exec_lo
	v_readlane_b32 s5, v124, 21
	s_and_b32 s5, s4, s5
	s_mov_b32 exec_lo, s5
	s_cbranch_execz .LBB0_241
; %bb.236:                              ;   in Loop: Header=BB0_225 Depth=1
	v_mov_b32_e32 v2, 0
	v_mov_b32_e32 v3, 0x3ff00000
	v_readlane_b32 s6, v124, 9
	s_mov_b32 s7, 1
	s_mov_b32 s5, 0
	s_branch .LBB0_238
.LBB0_237:                              ;   in Loop: Header=BB0_238 Depth=2
	s_or_b32 exec_lo, exec_lo, s8
	v_add_f64 v[2:3], v[2:3], 1.0
	v_cmp_eq_u32_e32 vcc_lo, s7, v47
	s_add_i32 s7, s7, 1
	s_add_i32 s6, s6, 56
	s_or_b32 s5, vcc_lo, s5
	s_andn2_b32 exec_lo, exec_lo, s5
	s_cbranch_execz .LBB0_241
.LBB0_238:                              ;   Parent Loop BB0_225 Depth=1
                                        ; =>  This Loop Header: Depth=2
                                        ;       Child Loop BB0_240 Depth 3
	s_mul_i32 s8, s7, 56
	s_lshr_b32 s9, s33, 5
	s_add_i32 s8, s9, s8
	s_addk_i32 s8, 0x130
	v_mov_b32_e32 v10, s8
	s_sub_i32 s8, s8, 56
	s_clause 0x1
	buffer_load_dword v6, v10, s[0:3], 0 offen
	buffer_load_dword v7, v10, s[0:3], 0 offen offset:4
	v_mov_b32_e32 v4, s8
	s_clause 0x1
	buffer_load_dword v8, v4, s[0:3], 0 offen
	buffer_load_dword v9, v4, s[0:3], 0 offen offset:4
	v_mul_f64 v[4:5], v[74:75], v[2:3]
	s_waitcnt vmcnt(2)
	v_mul_f64 v[6:7], v[0:1], v[6:7]
	s_waitcnt vmcnt(0)
	v_fma_f64 v[6:7], v[8:9], v[4:5], v[6:7]
	buffer_store_dword v7, v10, s[0:3], 0 offen offset:12
	buffer_store_dword v6, v10, s[0:3], 0 offen offset:8
	s_and_saveexec_b32 s8, s12
	s_cbranch_execz .LBB0_237
; %bb.239:                              ;   in Loop: Header=BB0_238 Depth=2
	s_mov_b32 s9, 1
	s_mov_b32 s10, 0
	;; [unrolled: 1-line block ×3, first 2 shown]
	.p2align	6
.LBB0_240:                              ;   Parent Loop BB0_225 Depth=1
                                        ;     Parent Loop BB0_238 Depth=2
                                        ; =>    This Inner Loop Header: Depth=3
	v_mov_b32_e32 v14, s11
	v_cvt_f64_i32_e32 v[12:13], s9
	s_add_i32 s9, s9, 1
	s_add_i32 s11, s11, 8
	v_cmp_eq_u32_e32 vcc_lo, s9, v90
	s_clause 0x3
	buffer_load_dword v8, v14, s[0:3], 0 offen offset:48
	buffer_load_dword v9, v14, s[0:3], 0 offen offset:52
	buffer_load_dword v10, v14, s[0:3], 0 offen
	buffer_load_dword v11, v14, s[0:3], 0 offen offset:4
	s_or_b32 s10, vcc_lo, s10
	v_mul_f64 v[12:13], v[104:105], v[12:13]
	s_waitcnt vmcnt(2)
	v_mul_f64 v[8:9], v[8:9], v[12:13]
	s_waitcnt vmcnt(0)
	v_fma_f64 v[8:9], v[4:5], v[10:11], v[8:9]
	v_fma_f64 v[6:7], v[0:1], v[6:7], v[8:9]
	buffer_store_dword v7, v14, s[0:3], 0 offen offset:68
	buffer_store_dword v6, v14, s[0:3], 0 offen offset:64
	s_andn2_b32 exec_lo, exec_lo, s10
	s_cbranch_execnz .LBB0_240
	s_branch .LBB0_237
.LBB0_241:                              ;   in Loop: Header=BB0_225 Depth=1
	s_or_b32 exec_lo, exec_lo, s4
	v_mov_b32_e32 v62, 0
	v_mov_b32_e32 v63, 0
	s_mov_b32 s5, exec_lo
	v_readlane_b32 s4, v124, 10
	s_and_b32 s4, s5, s4
	s_mov_b32 exec_lo, s4
	s_cbranch_execz .LBB0_249
; %bb.242:                              ;   in Loop: Header=BB0_225 Depth=1
	buffer_load_dword v122, off, s[0:3], s33 offset:844 ; 4-byte Folded Reload
	v_mov_b32_e32 v62, 0
	v_writelane_b32 v125, s5, 5
	v_mov_b32_e32 v63, 0
	s_mov_b32 s4, 0
	s_mov_b32 s102, 0
	s_branch .LBB0_244
.LBB0_243:                              ;   in Loop: Header=BB0_244 Depth=2
	s_or_b32 exec_lo, exec_lo, s97
	v_mov_b32_e32 v31, v40
	v_mov_b32_e32 v0, v44
	;; [unrolled: 1-line block ×3, first 2 shown]
	s_getpc_b64 s[16:17]
	s_add_u32 s16, s16, _Z13cuda_binomialii@rel32@lo+4
	s_addc_u32 s17, s17, _Z13cuda_binomialii@rel32@hi+12
	s_mov_b64 s[4:5], s[62:63]
	s_mov_b64 s[6:7], s[56:57]
	;; [unrolled: 1-line block ×4, first 2 shown]
	s_mov_b32 s12, s96
	s_mov_b32 s13, s68
	;; [unrolled: 1-line block ×4, first 2 shown]
	s_swappc_b64 s[30:31], s[16:17]
	v_subrev_nc_u32_e32 v1, s102, v44
	v_readlane_b32 s4, v124, 28
	s_mov_b32 s48, s36
	s_mov_b32 s68, s80
	;; [unrolled: 1-line block ×3, first 2 shown]
	v_cvt_f64_i32_e32 v[1:2], v1
	s_mov_b32 s6, 0x6a5dcb37
	s_mov_b32 s7, 0x3e5ade15
	v_readlane_b32 s62, v124, 6
	v_readlane_b32 s56, v124, 4
	;; [unrolled: 1-line block ×8, first 2 shown]
	v_add_nc_u32_e32 v122, 8, v122
	v_cndmask_b32_e64 v4, v2, 0x3ff00000, s4
	v_cndmask_b32_e64 v3, v1, 0, s4
	s_mov_b32 s4, 0x968915a9
	s_mov_b32 s5, 0x3fba6564
	v_cmp_neq_f64_e32 vcc_lo, 0, v[3:4]
	v_cndmask_b32_e32 v2, 0x3ff00000, v57, vcc_lo
	v_cndmask_b32_e32 v1, 0, v56, vcc_lo
	v_frexp_mant_f64_e64 v[5:6], |v[1:2]|
	v_cmp_gt_f64_e64 s8, 0, v[1:2]
	v_cmp_class_f64_e64 s10, v[1:2], 0x204
	v_cmp_o_f64_e64 s9, v[1:2], v[1:2]
	v_cmp_gt_f64_e32 vcc_lo, s[36:37], v[5:6]
	v_cndmask_b32_e64 v7, 0, 1, vcc_lo
	v_ldexp_f64 v[5:6], v[5:6], v7
	v_add_f64 v[7:8], v[5:6], 1.0
	v_add_f64 v[13:14], v[5:6], -1.0
	v_rcp_f64_e32 v[9:10], v[7:8]
	v_add_f64 v[15:16], v[7:8], -1.0
	v_add_f64 v[5:6], v[5:6], -v[15:16]
	v_fma_f64 v[11:12], -v[7:8], v[9:10], 1.0
	v_fma_f64 v[9:10], v[11:12], v[9:10], v[9:10]
	v_fma_f64 v[11:12], -v[7:8], v[9:10], 1.0
	v_fma_f64 v[9:10], v[11:12], v[9:10], v[9:10]
	v_mul_f64 v[11:12], v[13:14], v[9:10]
	v_mul_f64 v[17:18], v[7:8], v[11:12]
	v_fma_f64 v[7:8], v[11:12], v[7:8], -v[17:18]
	v_fma_f64 v[5:6], v[11:12], v[5:6], v[7:8]
	v_add_f64 v[7:8], v[17:18], v[5:6]
	v_add_f64 v[15:16], v[13:14], -v[7:8]
	v_add_f64 v[17:18], v[7:8], -v[17:18]
	;; [unrolled: 1-line block ×5, first 2 shown]
	v_add_f64 v[5:6], v[5:6], v[7:8]
	v_add_f64 v[5:6], v[15:16], v[5:6]
	v_mul_f64 v[5:6], v[9:10], v[5:6]
	v_add_f64 v[7:8], v[11:12], v[5:6]
	v_add_f64 v[9:10], v[7:8], -v[11:12]
	v_mul_f64 v[11:12], v[7:8], v[7:8]
	v_add_f64 v[5:6], v[5:6], -v[9:10]
	v_fma_f64 v[9:10], v[7:8], v[7:8], -v[11:12]
	v_add_f64 v[13:14], v[5:6], v[5:6]
	v_fma_f64 v[9:10], v[7:8], v[13:14], v[9:10]
	v_add_f64 v[13:14], v[11:12], v[9:10]
	v_fma_f64 v[15:16], v[13:14], s[66:67], s[4:5]
	v_add_f64 v[11:12], v[13:14], -v[11:12]
	v_mul_f64 v[21:22], v[7:8], v[13:14]
	s_mov_b32 s4, 0xd5df274d
	s_mov_b32 s5, 0x3c8543b0
	v_fma_f64 v[15:16], v[13:14], v[15:16], s[70:71]
	v_add_f64 v[9:10], v[9:10], -v[11:12]
	v_fma_f64 v[15:16], v[13:14], v[15:16], s[82:83]
	v_fma_f64 v[15:16], v[13:14], v[15:16], s[86:87]
	;; [unrolled: 1-line block ×6, first 2 shown]
	v_mul_f64 v[17:18], v[13:14], v[15:16]
	v_fma_f64 v[11:12], v[13:14], v[15:16], -v[17:18]
	v_fma_f64 v[11:12], v[9:10], v[15:16], v[11:12]
	v_add_f64 v[15:16], v[17:18], v[11:12]
	v_add_f64 v[19:20], v[15:16], s[36:37]
	v_add_f64 v[17:18], v[15:16], -v[17:18]
	v_add_f64 v[23:24], v[19:20], s[48:49]
	v_add_f64 v[11:12], v[11:12], -v[17:18]
	v_fma_f64 v[17:18], v[13:14], v[7:8], -v[21:22]
	v_add_f64 v[15:16], v[15:16], -v[23:24]
	v_add_f64 v[11:12], v[11:12], s[4:5]
	v_fma_f64 v[13:14], v[13:14], v[5:6], v[17:18]
	v_ldexp_f64 v[5:6], v[5:6], 1
	s_mov_b32 s4, 0x652b82fe
	s_mov_b32 s5, 0x3ff71547
	v_add_f64 v[11:12], v[11:12], v[15:16]
	v_fma_f64 v[9:10], v[9:10], v[7:8], v[13:14]
	v_ldexp_f64 v[7:8], v[7:8], 1
	v_add_f64 v[13:14], v[19:20], v[11:12]
	v_add_f64 v[15:16], v[21:22], v[9:10]
	v_add_f64 v[17:18], v[19:20], -v[13:14]
	v_mul_f64 v[19:20], v[15:16], v[13:14]
	v_add_f64 v[21:22], v[15:16], -v[21:22]
	v_add_f64 v[11:12], v[11:12], v[17:18]
	v_fma_f64 v[17:18], v[15:16], v[13:14], -v[19:20]
	v_add_f64 v[9:10], v[9:10], -v[21:22]
	v_fma_f64 v[11:12], v[15:16], v[11:12], v[17:18]
	v_fma_f64 v[9:10], v[9:10], v[13:14], v[11:12]
	v_frexp_exp_i32_f64_e32 v13, v[1:2]
	v_add_f64 v[11:12], v[19:20], v[9:10]
	v_subrev_co_ci_u32_e64 v13, null, 0, v13, vcc_lo
	v_cvt_f64_i32_e32 v[13:14], v13
	v_add_f64 v[15:16], v[7:8], v[11:12]
	v_add_f64 v[17:18], v[11:12], -v[19:20]
	v_mul_f64 v[19:20], v[13:14], s[80:81]
	v_add_f64 v[7:8], v[15:16], -v[7:8]
	v_add_f64 v[9:10], v[9:10], -v[17:18]
	v_fma_f64 v[17:18], v[13:14], s[80:81], -v[19:20]
	v_add_f64 v[7:8], v[11:12], -v[7:8]
	v_add_f64 v[5:6], v[5:6], v[9:10]
	v_fma_f64 v[9:10], v[13:14], s[54:55], v[17:18]
	v_add_f64 v[5:6], v[5:6], v[7:8]
	v_add_f64 v[7:8], v[19:20], v[9:10]
	v_add_f64 v[11:12], v[15:16], v[5:6]
	v_add_f64 v[19:20], v[7:8], -v[19:20]
	v_add_f64 v[13:14], v[7:8], v[11:12]
	v_add_f64 v[15:16], v[11:12], -v[15:16]
	v_add_f64 v[9:10], v[9:10], -v[19:20]
	;; [unrolled: 1-line block ×6, first 2 shown]
	v_add_f64 v[15:16], v[9:10], v[5:6]
	v_add_f64 v[7:8], v[7:8], -v[21:22]
	v_add_f64 v[7:8], v[11:12], v[7:8]
	v_add_f64 v[11:12], v[15:16], -v[9:10]
	;; [unrolled: 2-line block ×3, first 2 shown]
	v_add_f64 v[5:6], v[5:6], -v[11:12]
	v_add_f64 v[17:18], v[13:14], v[7:8]
	v_add_f64 v[9:10], v[9:10], -v[15:16]
	v_add_f64 v[11:12], v[17:18], -v[13:14]
	v_add_f64 v[5:6], v[5:6], v[9:10]
	v_add_f64 v[7:8], v[7:8], -v[11:12]
	v_add_f64 v[5:6], v[5:6], v[7:8]
	v_add_f64 v[7:8], v[17:18], v[5:6]
	v_add_f64 v[9:10], v[7:8], -v[17:18]
	v_mul_f64 v[11:12], v[3:4], v[7:8]
	v_add_f64 v[5:6], v[5:6], -v[9:10]
	v_fma_f64 v[7:8], v[3:4], v[7:8], -v[11:12]
	v_cmp_class_f64_e64 vcc_lo, v[11:12], 0x204
	v_fma_f64 v[5:6], v[3:4], v[5:6], v[7:8]
	v_add_f64 v[7:8], v[11:12], v[5:6]
	v_cndmask_b32_e32 v10, v8, v12, vcc_lo
	v_cndmask_b32_e32 v9, v7, v11, vcc_lo
	v_add_f64 v[7:8], v[7:8], -v[11:12]
	v_mul_f64 v[11:12], v[3:4], 0.5
	v_mul_f64 v[13:14], v[9:10], s[4:5]
	s_mov_b32 s4, 0xfca7ab0c
	s_mov_b32 s5, 0x3e928af3
	v_cmp_neq_f64_e64 vcc_lo, 0x7ff00000, |v[9:10]|
	v_add_f64 v[5:6], v[5:6], -v[7:8]
	v_trunc_f64_e32 v[7:8], v[3:4]
	v_rndne_f64_e32 v[13:14], v[13:14]
	v_cndmask_b32_e32 v6, 0, v6, vcc_lo
	v_cndmask_b32_e32 v5, 0, v5, vcc_lo
	v_cmp_eq_f64_e32 vcc_lo, v[7:8], v[3:4]
	v_fma_f64 v[15:16], v[13:14], s[68:69], v[9:10]
	v_cvt_i32_f64_e32 v19, v[13:14]
	s_mov_b32 s68, s103
	v_fma_f64 v[15:16], v[13:14], s[84:85], v[15:16]
	s_mov_b32 s84, s64
	v_fma_f64 v[17:18], v[15:16], s[6:7], s[4:5]
	s_mov_b32 s4, 0x623fde64
	s_mov_b32 s5, 0x3ec71dee
	v_cmp_gt_f64_e64 s6, 0, v[3:4]
	v_cmp_eq_f64_e64 s7, 0, v[1:2]
	v_cvt_f64_i32_e32 v[0:1], v0
	v_fma_f64 v[17:18], v[15:16], v[17:18], s[4:5]
	s_mov_b32 s4, 0x7c89e6b0
	s_mov_b32 s5, 0x3efa0199
	v_fma_f64 v[17:18], v[15:16], v[17:18], s[4:5]
	s_mov_b32 s4, 0x14761f6e
	s_mov_b32 s5, 0x3f2a01a0
	v_fma_f64 v[17:18], v[15:16], v[17:18], s[4:5]
	s_mov_b32 s4, 0x1852b7b0
	s_mov_b32 s5, 0x3f56c16c
	v_fma_f64 v[17:18], v[15:16], v[17:18], s[4:5]
	s_mov_b32 s4, 0x11122322
	s_mov_b32 s5, 0x3f811111
	v_fma_f64 v[17:18], v[15:16], v[17:18], s[4:5]
	s_mov_b32 s4, 0x555502a1
	s_mov_b32 s5, 0x3fa55555
	v_fma_f64 v[17:18], v[15:16], v[17:18], s[4:5]
	s_mov_b32 s4, 0x55555511
	s_mov_b32 s5, 0x3fc55555
	v_fma_f64 v[17:18], v[15:16], v[17:18], s[4:5]
	s_mov_b32 s4, 11
	s_mov_b32 s5, 0x3fe00000
	v_fma_f64 v[17:18], v[15:16], v[17:18], s[4:5]
	v_cmp_nlt_f64_e64 s4, 0x40900000, v[9:10]
	v_cmp_ngt_f64_e64 s5, 0xc090cc00, v[9:10]
	v_trunc_f64_e32 v[9:10], v[11:12]
	v_fma_f64 v[17:18], v[15:16], v[17:18], 1.0
	v_fma_f64 v[13:14], v[15:16], v[17:18], 1.0
	v_ldexp_f64 v[13:14], v[13:14], v19
	v_cndmask_b32_e64 v14, 0x7ff00000, v14, s4
	s_and_b32 s4, s5, s4
	v_cndmask_b32_e64 v13, 0, v13, s4
	v_cmp_neq_f64_e64 s4, v[9:10], v[11:12]
	v_cndmask_b32_e64 v14, 0, v14, s5
	v_fma_f64 v[5:6], v[13:14], v[5:6], v[13:14]
	v_cmp_class_f64_e64 s5, v[13:14], 0x204
	s_and_b32 s4, vcc_lo, s4
	v_cndmask_b32_e64 v3, 0x3ff00000, v2, s4
	v_cndmask_b32_e64 v2, 0, v2, s4
	v_readlane_b32 s4, v125, 6
	v_cndmask_b32_e64 v4, v6, v14, s5
	v_cndmask_b32_e64 v5, v5, v13, s5
	s_xor_b32 s5, s6, s7
	v_bfi_b32 v3, 0x7fffffff, v4, v3
	v_cndmask_b32_e64 v4, 0x7ff00000, 0, s5
	v_cndmask_b32_e32 v6, 0, v5, vcc_lo
	v_cndmask_b32_e32 v7, 0x7ff80000, v3, vcc_lo
	v_bfi_b32 v2, 0x7fffffff, v4, v2
	v_cndmask_b32_e64 v4, v5, v6, s8
	s_or_b32 vcc_lo, s7, s10
	v_cndmask_b32_e64 v3, v3, v7, s8
	v_cndmask_b32_e64 v4, v4, 0, vcc_lo
	v_cndmask_b32_e32 v3, v3, v2, vcc_lo
	v_cmp_eq_u32_e32 vcc_lo, s102, v44
	v_cndmask_b32_e64 v2, 0, v4, s9
	s_add_i32 s102, s102, 1
	v_cndmask_b32_e64 v3, 0x7ff80000, v3, s9
	s_or_b32 s4, vcc_lo, s4
	v_mul_f64 v[0:1], v[2:3], v[0:1]
	v_fma_f64 v[62:63], v[120:121], v[0:1], v[62:63]
	s_andn2_b32 exec_lo, exec_lo, s4
	s_cbranch_execz .LBB0_248
.LBB0_244:                              ;   Parent Loop BB0_225 Depth=1
                                        ; =>  This Loop Header: Depth=2
                                        ;       Child Loop BB0_246 Depth 3
	v_mov_b32_e32 v120, 0
	v_writelane_b32 v125, s4, 6
	v_mov_b32_e32 v121, 0
	s_mov_b32 s97, exec_lo
	v_readlane_b32 s4, v124, 11
	s_and_b32 s4, s97, s4
	s_mov_b32 exec_lo, s4
	s_cbranch_execz .LBB0_243
; %bb.245:                              ;   in Loop: Header=BB0_244 Depth=2
	v_mov_b32_e32 v120, 0
	v_mov_b32_e32 v121, 0
	;; [unrolled: 1-line block ×3, first 2 shown]
	s_waitcnt vmcnt(0)
	v_mov_b32_e32 v42, v122
	s_mov_b32 s38, 0x924920da
	s_mov_b32 s34, 0x1c7792ce
	s_mov_b32 s52, 0x71bf3c30
	s_mov_b32 s50, 0xcfa74449
	s_mov_b32 s86, 0x47e6c9c2
	s_mov_b32 s82, 0x3abe935a
	s_mov_b32 s70, 0x4222de17
	s_mov_b32 s66, 0x968915a9
	s_mov_b32 s101, 0
	s_mov_b32 s104, s99
	s_mov_b32 s99, 0
	s_mov_b32 s39, 0x3fd24924
	s_mov_b32 s35, 0x3fcc71c7
	s_mov_b32 s53, 0x3fc745d1
	s_mov_b32 s51, 0x3fc3b13b
	s_mov_b32 s87, 0x3fc110ef
	s_mov_b32 s83, 0x3fbe25e4
	s_mov_b32 s71, 0x3fbdee67
	s_mov_b32 s67, 0x3fba6564
.LBB0_246:                              ;   Parent Loop BB0_225 Depth=1
                                        ;     Parent Loop BB0_244 Depth=2
                                        ; =>    This Inner Loop Header: Depth=3
	v_mov_b32_e32 v31, v40
	v_mov_b32_e32 v0, v41
	v_mov_b32_e32 v1, s99
	s_getpc_b64 s[16:17]
	s_add_u32 s16, s16, _Z13cuda_binomialii@rel32@lo+4
	s_addc_u32 s17, s17, _Z13cuda_binomialii@rel32@hi+12
	s_mov_b64 s[4:5], s[62:63]
	s_mov_b64 s[6:7], s[56:57]
	;; [unrolled: 1-line block ×4, first 2 shown]
	s_mov_b32 s12, s96
	s_mov_b32 s13, s68
	;; [unrolled: 1-line block ×4, first 2 shown]
	s_swappc_b64 s[30:31], s[16:17]
	v_cvt_f64_i32_e32 v[2:3], v89
	s_mov_b32 s16, 0x9999999c
	s_mov_b32 s17, 0x3fd99999
	;; [unrolled: 1-line block ×17, first 2 shown]
	v_cvt_f64_i32_e32 v[0:1], v0
	v_add_nc_u32_e32 v89, -1, v89
	v_readlane_b32 s62, v124, 6
	v_readlane_b32 s56, v124, 4
	v_cndmask_b32_e64 v5, v3, 0x3ff00000, s65
	v_cndmask_b32_e64 v4, v2, 0, s65
	v_readlane_b32 s94, v124, 2
	v_readlane_b32 s90, v124, 0
	;; [unrolled: 1-line block ×4, first 2 shown]
	v_cmp_neq_f64_e32 vcc_lo, 0, v[4:5]
	v_readlane_b32 s95, v124, 3
	v_readlane_b32 s91, v124, 1
	s_add_i32 s99, s99, 1
	v_cndmask_b32_e32 v3, 0x3ff00000, v77, vcc_lo
	v_cndmask_b32_e32 v2, 0, v76, vcc_lo
	v_frexp_mant_f64_e64 v[6:7], |v[2:3]|
	v_frexp_exp_i32_f64_e32 v8, v[2:3]
	v_cmp_gt_f64_e32 vcc_lo, s[36:37], v[6:7]
	v_cndmask_b32_e64 v9, 0, 1, vcc_lo
	v_subrev_co_ci_u32_e64 v24, null, 0, v8, vcc_lo
	v_ldexp_f64 v[6:7], v[6:7], v9
	v_add_f64 v[10:11], v[6:7], 1.0
	v_add_f64 v[8:9], v[6:7], -1.0
	v_add_f64 v[12:13], v[10:11], -1.0
	v_add_f64 v[6:7], v[6:7], -v[12:13]
	v_rcp_f64_e32 v[12:13], v[10:11]
	v_fma_f64 v[14:15], -v[10:11], v[12:13], 1.0
	v_fma_f64 v[12:13], v[14:15], v[12:13], v[12:13]
	v_fma_f64 v[14:15], -v[10:11], v[12:13], 1.0
	v_fma_f64 v[12:13], v[14:15], v[12:13], v[12:13]
	v_mul_f64 v[14:15], v[8:9], v[12:13]
	v_mul_f64 v[16:17], v[10:11], v[14:15]
	v_fma_f64 v[10:11], v[14:15], v[10:11], -v[16:17]
	v_fma_f64 v[6:7], v[14:15], v[6:7], v[10:11]
	v_add_f64 v[10:11], v[16:17], v[6:7]
	v_add_f64 v[18:19], v[8:9], -v[10:11]
	v_add_f64 v[16:17], v[10:11], -v[16:17]
	;; [unrolled: 1-line block ×5, first 2 shown]
	v_add_f64 v[6:7], v[6:7], v[8:9]
	v_add_f64 v[6:7], v[18:19], v[6:7]
	v_mul_f64 v[6:7], v[12:13], v[6:7]
	v_add_f64 v[16:17], v[14:15], v[6:7]
	v_add_f64 v[8:9], v[16:17], -v[14:15]
	v_ldexp_f64 v[12:13], v[16:17], 1
	v_add_f64 v[14:15], v[6:7], -v[8:9]
	v_mul_f64 v[6:7], v[16:17], v[16:17]
	v_add_f64 v[10:11], v[14:15], v[14:15]
	v_fma_f64 v[8:9], v[16:17], v[16:17], -v[6:7]
	v_fma_f64 v[8:9], v[16:17], v[10:11], v[8:9]
	v_add_f64 v[18:19], v[6:7], v[8:9]
	v_add_f64 v[6:7], v[18:19], -v[6:7]
	v_add_f64 v[20:21], v[8:9], -v[6:7]
	v_fma_f64 v[6:7], v[18:19], s[70:71], s[66:67]
	v_fma_f64 v[6:7], v[18:19], v[6:7], s[82:83]
	;; [unrolled: 1-line block ×8, first 2 shown]
	v_cvt_f64_i32_e32 v[6:7], v24
	v_mul_f64 v[24:25], v[16:17], v[18:19]
	v_mul_f64 v[10:11], v[6:7], s[80:81]
	v_fma_f64 v[26:27], v[18:19], v[16:17], -v[24:25]
	v_fma_f64 v[8:9], v[6:7], s[80:81], -v[10:11]
	v_fma_f64 v[6:7], v[6:7], s[54:55], v[8:9]
	v_add_f64 v[8:9], v[10:11], v[6:7]
	v_add_f64 v[10:11], v[8:9], -v[10:11]
	v_add_f64 v[6:7], v[6:7], -v[10:11]
	v_ldexp_f64 v[10:11], v[14:15], 1
	v_fma_f64 v[14:15], v[18:19], v[14:15], v[26:27]
	v_fma_f64 v[14:15], v[20:21], v[16:17], v[14:15]
	v_add_f64 v[16:17], v[24:25], v[14:15]
	v_add_f64 v[24:25], v[16:17], -v[24:25]
	v_add_f64 v[14:15], v[14:15], -v[24:25]
	v_mul_f64 v[24:25], v[18:19], v[22:23]
	v_fma_f64 v[18:19], v[18:19], v[22:23], -v[24:25]
	v_fma_f64 v[18:19], v[20:21], v[22:23], v[18:19]
	v_add_f64 v[22:23], v[24:25], v[18:19]
	v_add_f64 v[20:21], v[22:23], -v[24:25]
	v_add_f64 v[20:21], v[18:19], -v[20:21]
	v_add_f64 v[18:19], v[22:23], s[36:37]
	v_add_f64 v[20:21], v[20:21], s[14:15]
	;; [unrolled: 1-line block ×3, first 2 shown]
	v_add_f64 v[22:23], v[22:23], -v[24:25]
	v_add_f64 v[20:21], v[20:21], v[22:23]
	v_add_f64 v[22:23], v[18:19], v[20:21]
	v_add_f64 v[18:19], v[18:19], -v[22:23]
	v_add_f64 v[18:19], v[20:21], v[18:19]
	v_mul_f64 v[20:21], v[16:17], v[22:23]
	v_fma_f64 v[24:25], v[16:17], v[22:23], -v[20:21]
	v_fma_f64 v[16:17], v[16:17], v[18:19], v[24:25]
	v_fma_f64 v[14:15], v[14:15], v[22:23], v[16:17]
	v_add_f64 v[16:17], v[20:21], v[14:15]
	v_add_f64 v[18:19], v[16:17], -v[20:21]
	v_add_f64 v[14:15], v[14:15], -v[18:19]
	v_add_f64 v[18:19], v[12:13], v[16:17]
	v_add_f64 v[10:11], v[10:11], v[14:15]
	v_add_f64 v[12:13], v[18:19], -v[12:13]
	v_add_f64 v[12:13], v[16:17], -v[12:13]
	v_add_f64 v[10:11], v[10:11], v[12:13]
	;; [unrolled: 4-line block ×3, first 2 shown]
	v_add_f64 v[16:17], v[14:15], -v[8:9]
	v_add_f64 v[18:19], v[14:15], -v[16:17]
	v_add_f64 v[12:13], v[12:13], -v[16:17]
	v_add_f64 v[8:9], v[8:9], -v[18:19]
	v_add_f64 v[8:9], v[12:13], v[8:9]
	v_add_f64 v[12:13], v[6:7], v[10:11]
	v_add_f64 v[16:17], v[12:13], -v[6:7]
	v_add_f64 v[8:9], v[12:13], v[8:9]
	v_add_f64 v[18:19], v[12:13], -v[16:17]
	v_add_f64 v[10:11], v[10:11], -v[16:17]
	;; [unrolled: 1-line block ×3, first 2 shown]
	v_add_f64 v[6:7], v[10:11], v[6:7]
	v_add_f64 v[10:11], v[14:15], v[8:9]
	v_add_f64 v[12:13], v[10:11], -v[14:15]
	v_add_f64 v[8:9], v[8:9], -v[12:13]
	v_add_f64 v[6:7], v[6:7], v[8:9]
	v_add_f64 v[8:9], v[10:11], v[6:7]
	v_add_f64 v[10:11], v[8:9], -v[10:11]
	v_add_f64 v[6:7], v[6:7], -v[10:11]
	v_mul_f64 v[10:11], v[4:5], v[8:9]
	v_fma_f64 v[8:9], v[4:5], v[8:9], -v[10:11]
	v_cmp_class_f64_e64 vcc_lo, v[10:11], 0x204
	v_fma_f64 v[6:7], v[4:5], v[6:7], v[8:9]
	v_add_f64 v[8:9], v[10:11], v[6:7]
	v_add_f64 v[12:13], v[8:9], -v[10:11]
	v_cndmask_b32_e32 v9, v9, v11, vcc_lo
	v_cndmask_b32_e32 v8, v8, v10, vcc_lo
	v_mul_f64 v[10:11], v[8:9], s[4:5]
	s_mov_b32 s4, 0x14761f6e
	s_mov_b32 s5, 0x3f2a01a0
	v_cmp_neq_f64_e64 vcc_lo, 0x7ff00000, |v[8:9]|
	v_add_f64 v[6:7], v[6:7], -v[12:13]
	v_rndne_f64_e32 v[10:11], v[10:11]
	v_cndmask_b32_e32 v7, 0, v7, vcc_lo
	v_cndmask_b32_e32 v6, 0, v6, vcc_lo
	v_cmp_nlt_f64_e32 vcc_lo, 0x40900000, v[8:9]
	v_fma_f64 v[12:13], v[10:11], s[68:69], v[8:9]
	s_mov_b32 s68, s103
	v_fma_f64 v[12:13], v[10:11], s[84:85], v[12:13]
	v_cvt_i32_f64_e32 v10, v[10:11]
	s_mov_b32 s84, s64
	v_fma_f64 v[14:15], v[12:13], s[8:9], s[6:7]
	s_mov_b32 s6, 0x1852b7b0
	s_mov_b32 s7, 0x3f56c16c
	;; [unrolled: 1-line block ×4, first 2 shown]
	v_fma_f64 v[14:15], v[12:13], v[14:15], s[10:11]
	s_mov_b32 s10, 0x555502a1
	s_mov_b32 s11, 0x3fa55555
	v_fma_f64 v[14:15], v[12:13], v[14:15], s[12:13]
	s_mov_b32 s12, 0x55555511
	s_mov_b32 s13, 0x3fc55555
	v_fma_f64 v[14:15], v[12:13], v[14:15], s[4:5]
	s_mov_b32 s4, 11
	s_mov_b32 s5, 0x3fe00000
	v_fma_f64 v[14:15], v[12:13], v[14:15], s[6:7]
	v_cmp_gt_f64_e64 s6, 0, v[4:5]
	v_fma_f64 v[14:15], v[12:13], v[14:15], s[8:9]
	v_fma_f64 v[14:15], v[12:13], v[14:15], s[10:11]
	;; [unrolled: 1-line block ×4, first 2 shown]
	v_cmp_ngt_f64_e64 s4, 0xc090cc00, v[8:9]
	v_cmp_gt_f64_e64 s5, 0, v[2:3]
	v_fma_f64 v[14:15], v[12:13], v[14:15], 1.0
	v_fma_f64 v[12:13], v[12:13], v[14:15], 1.0
	v_ldexp_f64 v[10:11], v[12:13], v10
	v_cndmask_b32_e32 v11, 0x7ff00000, v11, vcc_lo
	s_and_b32 vcc_lo, s4, vcc_lo
	v_cndmask_b32_e32 v8, 0, v10, vcc_lo
	v_cndmask_b32_e64 v9, 0, v11, s4
	v_fma_f64 v[6:7], v[8:9], v[6:7], v[8:9]
	v_cmp_class_f64_e64 vcc_lo, v[8:9], 0x204
	v_cndmask_b32_e32 v10, v6, v8, vcc_lo
	v_cndmask_b32_e32 v11, v7, v9, vcc_lo
	v_trunc_f64_e32 v[6:7], v[4:5]
	v_cmp_eq_f64_e32 vcc_lo, v[6:7], v[4:5]
	v_mul_f64 v[6:7], v[4:5], 0.5
	v_trunc_f64_e32 v[8:9], v[6:7]
	v_cmp_neq_f64_e64 s4, v[8:9], v[6:7]
	v_cndmask_b32_e32 v8, 0, v10, vcc_lo
	v_cndmask_b32_e64 v8, v10, v8, s5
	s_and_b32 s4, vcc_lo, s4
	v_cndmask_b32_e64 v6, 0x3ff00000, v3, s4
	v_cndmask_b32_e64 v5, 0, v3, s4
	v_bfi_b32 v6, 0x7fffffff, v11, v6
	v_cndmask_b32_e32 v7, 0x7ff80000, v6, vcc_lo
	v_cmp_eq_f64_e32 vcc_lo, 0, v[2:3]
	v_cndmask_b32_e64 v6, v6, v7, s5
	v_cmp_class_f64_e64 s5, v[2:3], 0x204
	s_xor_b32 s6, s6, vcc_lo
	v_cndmask_b32_e64 v4, 0x7ff00000, 0, s6
	s_or_b32 s5, vcc_lo, s5
	v_cmp_o_f64_e32 vcc_lo, v[2:3], v[2:3]
	v_bfi_b32 v4, 0x7fffffff, v4, v5
	v_cndmask_b32_e64 v5, v8, 0, s5
	v_cndmask_b32_e64 v4, v6, v4, s5
	v_cndmask_b32_e32 v2, 0, v5, vcc_lo
	v_cndmask_b32_e32 v3, 0x7ff80000, v4, vcc_lo
	v_cmp_eq_u32_e32 vcc_lo, -1, v89
	v_mul_f64 v[0:1], v[2:3], v[0:1]
	s_clause 0x1
	buffer_load_dword v2, v42, s[0:3], 0 offen
	buffer_load_dword v3, v42, s[0:3], 0 offen offset:4
	v_add_nc_u32_e32 v42, 56, v42
	s_or_b32 s101, vcc_lo, s101
	s_waitcnt vmcnt(0)
	v_fma_f64 v[120:121], v[2:3], v[0:1], v[120:121]
	s_andn2_b32 exec_lo, exec_lo, s101
	s_cbranch_execnz .LBB0_246
; %bb.247:                              ;   in Loop: Header=BB0_244 Depth=2
	s_or_b32 exec_lo, exec_lo, s101
	s_mov_b32 s66, 0x4222de17
	s_mov_b32 s70, 0x3abe935a
	;; [unrolled: 1-line block ×17, first 2 shown]
	s_branch .LBB0_243
.LBB0_248:                              ;   in Loop: Header=BB0_225 Depth=1
	s_or_b32 exec_lo, exec_lo, s4
	v_readlane_b32 s12, v124, 31
	v_readlane_b32 s13, v125, 0
	;; [unrolled: 1-line block ×4, first 2 shown]
.LBB0_249:                              ;   in Loop: Header=BB0_225 Depth=1
	s_or_b32 exec_lo, exec_lo, s5
	s_clause 0x3
	buffer_load_dword v0, off, s[0:3], s33 offset:796
	buffer_load_dword v1, off, s[0:3], s33 offset:800
	;; [unrolled: 1-line block ×4, first 2 shown]
	s_waitcnt vmcnt(2)
	v_mul_f64 v[0:1], v[0:1], v[74:75]
	v_add_f64 v[0:1], v[0:1], v[0:1]
	s_waitcnt vmcnt(0)
	v_fma_f64 v[2:3], v[2:3], v[108:109], v[0:1]
	s_clause 0x1
	buffer_load_dword v0, off, s[0:3], s33 offset:704
	buffer_load_dword v1, off, s[0:3], s33 offset:708
	s_waitcnt vmcnt(0)
	buffer_store_dword v1, off, s[0:3], s33 offset:308
	buffer_store_dword v0, off, s[0:3], s33 offset:304
	s_mov_b32 s4, exec_lo
	v_readlane_b32 s5, v124, 22
	s_and_b32 s5, s4, s5
	s_mov_b32 exec_lo, s5
	s_cbranch_execz .LBB0_251
; %bb.250:                              ;   in Loop: Header=BB0_225 Depth=1
	s_clause 0x1
	buffer_load_dword v0, off, s[0:3], s33 offset:704
	buffer_load_dword v1, off, s[0:3], s33 offset:708
	s_waitcnt vmcnt(0)
	v_mul_f64 v[0:1], v[0:1], v[2:3]
	buffer_store_dword v1, off, s[0:3], s33 offset:364
	buffer_store_dword v0, off, s[0:3], s33 offset:360
.LBB0_251:                              ;   in Loop: Header=BB0_225 Depth=1
	s_or_b32 exec_lo, exec_lo, s4
	s_clause 0x3
	buffer_load_dword v0, off, s[0:3], s33 offset:804
	buffer_load_dword v1, off, s[0:3], s33 offset:808
	;; [unrolled: 1-line block ×4, first 2 shown]
	s_waitcnt vmcnt(2)
	v_mul_f64 v[0:1], v[0:1], v[74:75]
	v_add_f64 v[0:1], v[0:1], v[0:1]
	s_waitcnt vmcnt(0)
	v_fma_f64 v[0:1], v[4:5], v[108:109], v[0:1]
	s_mov_b32 s4, exec_lo
	v_readlane_b32 s5, v124, 23
	s_and_b32 s5, s4, s5
	s_mov_b32 exec_lo, s5
	s_cbranch_execz .LBB0_253
; %bb.252:                              ;   in Loop: Header=BB0_225 Depth=1
	s_clause 0x1
	buffer_load_dword v4, off, s[0:3], s33 offset:704
	buffer_load_dword v5, off, s[0:3], s33 offset:708
	s_waitcnt vmcnt(0)
	v_mul_f64 v[4:5], v[4:5], v[0:1]
	buffer_store_dword v5, off, s[0:3], s33 offset:316
	buffer_store_dword v4, off, s[0:3], s33 offset:312
.LBB0_253:                              ;   in Loop: Header=BB0_225 Depth=1
	s_or_b32 exec_lo, exec_lo, s4
	s_mov_b32 s4, exec_lo
	v_readlane_b32 s5, v124, 17
	s_and_b32 s5, s4, s5
	s_mov_b32 exec_lo, s5
	s_cbranch_execz .LBB0_256
; %bb.254:                              ;   in Loop: Header=BB0_225 Depth=1
	s_clause 0x1
	buffer_load_dword v4, off, s[0:3], s33 offset:360
	buffer_load_dword v5, off, s[0:3], s33 offset:364
	s_lshr_b32 s5, s33, 5
	s_mov_b32 s6, 1
	s_addk_i32 s5, 0x130
	s_mov_b32 s7, 0
	.p2align	6
.LBB0_255:                              ;   Parent Loop BB0_225 Depth=1
                                        ; =>  This Inner Loop Header: Depth=2
	v_mov_b32_e32 v10, s5
	v_cvt_f64_i32_e32 v[8:9], s6
	s_add_i32 s6, s6, 1
	s_add_i32 s5, s5, 56
	v_cmp_eq_u32_e32 vcc_lo, s6, v91
	s_clause 0x1
	buffer_load_dword v6, v10, s[0:3], 0 offen
	buffer_load_dword v7, v10, s[0:3], 0 offen offset:4
	s_or_b32 s7, vcc_lo, s7
	v_mul_f64 v[8:9], v[106:107], v[8:9]
	s_waitcnt vmcnt(0)
	v_mul_f64 v[6:7], v[6:7], v[8:9]
	v_fma_f64 v[4:5], v[2:3], v[4:5], v[6:7]
	buffer_store_dword v5, v10, s[0:3], 0 offen offset:116
	buffer_store_dword v4, v10, s[0:3], 0 offen offset:112
	s_andn2_b32 exec_lo, exec_lo, s7
	s_cbranch_execnz .LBB0_255
.LBB0_256:                              ;   in Loop: Header=BB0_225 Depth=1
	s_or_b32 exec_lo, exec_lo, s4
	s_and_saveexec_b32 s4, s13
	s_cbranch_execz .LBB0_259
; %bb.257:                              ;   in Loop: Header=BB0_225 Depth=1
	s_clause 0x1
	buffer_load_dword v2, off, s[0:3], s33 offset:312
	buffer_load_dword v3, off, s[0:3], s33 offset:316
	s_lshr_b32 s5, s33, 5
	s_mov_b32 s6, 1
	s_addk_i32 s5, 0x130
	s_mov_b32 s7, 0
	.p2align	6
.LBB0_258:                              ;   Parent Loop BB0_225 Depth=1
                                        ; =>  This Inner Loop Header: Depth=2
	v_mov_b32_e32 v8, s5
	v_cvt_f64_i32_e32 v[6:7], s6
	s_add_i32 s6, s6, 1
	s_add_i32 s5, s5, 8
	v_cmp_eq_u32_e32 vcc_lo, s6, v78
	s_clause 0x1
	buffer_load_dword v4, v8, s[0:3], 0 offen
	buffer_load_dword v5, v8, s[0:3], 0 offen offset:4
	s_or_b32 s7, vcc_lo, s7
	v_mul_f64 v[6:7], v[104:105], v[6:7]
	s_waitcnt vmcnt(0)
	v_mul_f64 v[4:5], v[4:5], v[6:7]
	v_fma_f64 v[2:3], v[0:1], v[2:3], v[4:5]
	buffer_store_dword v3, v8, s[0:3], 0 offen offset:20
	buffer_store_dword v2, v8, s[0:3], 0 offen offset:16
	s_andn2_b32 exec_lo, exec_lo, s7
	s_cbranch_execnz .LBB0_258
.LBB0_259:                              ;   in Loop: Header=BB0_225 Depth=1
	s_or_b32 exec_lo, exec_lo, s4
	s_mov_b32 s4, exec_lo
	v_readlane_b32 s5, v124, 24
	s_and_b32 s5, s4, s5
	s_mov_b32 exec_lo, s5
	s_cbranch_execz .LBB0_265
; %bb.260:                              ;   in Loop: Header=BB0_225 Depth=1
	v_mov_b32_e32 v2, 0
	v_mov_b32_e32 v3, 0x3ff00000
	v_readlane_b32 s6, v124, 9
	s_mov_b32 s7, 1
	s_mov_b32 s5, 0
	s_branch .LBB0_262
.LBB0_261:                              ;   in Loop: Header=BB0_262 Depth=2
	s_or_b32 exec_lo, exec_lo, s8
	v_add_f64 v[2:3], v[2:3], 1.0
	v_cmp_eq_u32_e32 vcc_lo, s7, v91
	s_add_i32 s7, s7, 1
	s_add_i32 s6, s6, 56
	s_or_b32 s5, vcc_lo, s5
	s_andn2_b32 exec_lo, exec_lo, s5
	s_cbranch_execz .LBB0_265
.LBB0_262:                              ;   Parent Loop BB0_225 Depth=1
                                        ; =>  This Loop Header: Depth=2
                                        ;       Child Loop BB0_264 Depth 3
	s_mul_i32 s8, s7, 56
	s_lshr_b32 s9, s33, 5
	s_add_i32 s8, s9, s8
	s_addk_i32 s8, 0x130
	v_mov_b32_e32 v10, s8
	s_sub_i32 s8, s8, 56
	s_clause 0x1
	buffer_load_dword v6, v10, s[0:3], 0 offen
	buffer_load_dword v7, v10, s[0:3], 0 offen offset:4
	v_mov_b32_e32 v4, s8
	s_clause 0x1
	buffer_load_dword v8, v4, s[0:3], 0 offen
	buffer_load_dword v9, v4, s[0:3], 0 offen offset:4
	v_mul_f64 v[4:5], v[74:75], v[2:3]
	s_waitcnt vmcnt(2)
	v_mul_f64 v[6:7], v[0:1], v[6:7]
	s_waitcnt vmcnt(0)
	v_fma_f64 v[6:7], v[8:9], v[4:5], v[6:7]
	buffer_store_dword v7, v10, s[0:3], 0 offen offset:12
	buffer_store_dword v6, v10, s[0:3], 0 offen offset:8
	s_and_saveexec_b32 s8, s13
	s_cbranch_execz .LBB0_261
; %bb.263:                              ;   in Loop: Header=BB0_262 Depth=2
	s_mov_b32 s9, 1
	s_mov_b32 s10, 0
	;; [unrolled: 1-line block ×3, first 2 shown]
	.p2align	6
.LBB0_264:                              ;   Parent Loop BB0_225 Depth=1
                                        ;     Parent Loop BB0_262 Depth=2
                                        ; =>    This Inner Loop Header: Depth=3
	v_mov_b32_e32 v14, s11
	v_cvt_f64_i32_e32 v[12:13], s9
	s_add_i32 s9, s9, 1
	s_add_i32 s11, s11, 8
	v_cmp_eq_u32_e32 vcc_lo, s9, v78
	s_clause 0x3
	buffer_load_dword v8, v14, s[0:3], 0 offen offset:48
	buffer_load_dword v9, v14, s[0:3], 0 offen offset:52
	buffer_load_dword v10, v14, s[0:3], 0 offen
	buffer_load_dword v11, v14, s[0:3], 0 offen offset:4
	s_or_b32 s10, vcc_lo, s10
	v_mul_f64 v[12:13], v[104:105], v[12:13]
	s_waitcnt vmcnt(2)
	v_mul_f64 v[8:9], v[8:9], v[12:13]
	s_waitcnt vmcnt(0)
	v_fma_f64 v[8:9], v[4:5], v[10:11], v[8:9]
	v_fma_f64 v[6:7], v[0:1], v[6:7], v[8:9]
	buffer_store_dword v7, v14, s[0:3], 0 offen offset:68
	buffer_store_dword v6, v14, s[0:3], 0 offen offset:64
	s_andn2_b32 exec_lo, exec_lo, s10
	s_cbranch_execnz .LBB0_264
	s_branch .LBB0_261
.LBB0_265:                              ;   in Loop: Header=BB0_225 Depth=1
	s_or_b32 exec_lo, exec_lo, s4
	v_mov_b32_e32 v120, 0
	v_mov_b32_e32 v121, 0
	s_mov_b32 s5, exec_lo
	v_readlane_b32 s4, v124, 12
	s_and_b32 s4, s5, s4
	s_mov_b32 exec_lo, s4
	s_cbranch_execz .LBB0_273
; %bb.266:                              ;   in Loop: Header=BB0_225 Depth=1
	buffer_load_dword v89, off, s[0:3], s33 offset:848 ; 4-byte Folded Reload
	v_mov_b32_e32 v120, 0
	v_writelane_b32 v125, s5, 5
	v_mov_b32_e32 v121, 0
	s_mov_b32 s4, 0
	s_mov_b32 s102, 0
	s_branch .LBB0_268
.LBB0_267:                              ;   in Loop: Header=BB0_268 Depth=2
	s_or_b32 exec_lo, exec_lo, s97
	v_mov_b32_e32 v31, v40
	v_mov_b32_e32 v0, v45
	;; [unrolled: 1-line block ×3, first 2 shown]
	s_getpc_b64 s[16:17]
	s_add_u32 s16, s16, _Z13cuda_binomialii@rel32@lo+4
	s_addc_u32 s17, s17, _Z13cuda_binomialii@rel32@hi+12
	s_mov_b64 s[4:5], s[62:63]
	s_mov_b64 s[6:7], s[56:57]
	;; [unrolled: 1-line block ×4, first 2 shown]
	s_mov_b32 s12, s96
	s_mov_b32 s13, s68
	s_mov_b32 s14, s84
	s_mov_b32 s15, s99
	s_swappc_b64 s[30:31], s[16:17]
	v_subrev_nc_u32_e32 v1, s102, v45
	v_readlane_b32 s4, v124, 29
	s_mov_b32 s48, s36
	s_mov_b32 s68, s80
	;; [unrolled: 1-line block ×3, first 2 shown]
	v_cvt_f64_i32_e32 v[1:2], v1
	s_mov_b32 s6, 0x6a5dcb37
	s_mov_b32 s7, 0x3e5ade15
	v_readlane_b32 s62, v124, 6
	v_readlane_b32 s56, v124, 4
	;; [unrolled: 1-line block ×8, first 2 shown]
	v_add_nc_u32_e32 v89, 8, v89
	v_cndmask_b32_e64 v4, v2, 0x3ff00000, s4
	v_cndmask_b32_e64 v3, v1, 0, s4
	s_mov_b32 s4, 0x968915a9
	s_mov_b32 s5, 0x3fba6564
	v_cmp_neq_f64_e32 vcc_lo, 0, v[3:4]
	v_cndmask_b32_e32 v2, 0x3ff00000, v61, vcc_lo
	v_cndmask_b32_e32 v1, 0, v60, vcc_lo
	v_frexp_mant_f64_e64 v[5:6], |v[1:2]|
	v_cmp_gt_f64_e32 vcc_lo, s[36:37], v[5:6]
	v_cndmask_b32_e64 v7, 0, 1, vcc_lo
	v_ldexp_f64 v[5:6], v[5:6], v7
	v_add_f64 v[7:8], v[5:6], 1.0
	v_add_f64 v[13:14], v[5:6], -1.0
	v_rcp_f64_e32 v[9:10], v[7:8]
	v_add_f64 v[15:16], v[7:8], -1.0
	v_add_f64 v[5:6], v[5:6], -v[15:16]
	v_fma_f64 v[11:12], -v[7:8], v[9:10], 1.0
	v_fma_f64 v[9:10], v[11:12], v[9:10], v[9:10]
	v_fma_f64 v[11:12], -v[7:8], v[9:10], 1.0
	v_fma_f64 v[9:10], v[11:12], v[9:10], v[9:10]
	v_mul_f64 v[11:12], v[13:14], v[9:10]
	v_mul_f64 v[17:18], v[7:8], v[11:12]
	v_fma_f64 v[7:8], v[11:12], v[7:8], -v[17:18]
	v_fma_f64 v[5:6], v[11:12], v[5:6], v[7:8]
	v_add_f64 v[7:8], v[17:18], v[5:6]
	v_add_f64 v[15:16], v[13:14], -v[7:8]
	v_add_f64 v[17:18], v[7:8], -v[17:18]
	;; [unrolled: 1-line block ×5, first 2 shown]
	v_add_f64 v[5:6], v[5:6], v[7:8]
	v_add_f64 v[5:6], v[15:16], v[5:6]
	v_mul_f64 v[5:6], v[9:10], v[5:6]
	v_add_f64 v[7:8], v[11:12], v[5:6]
	v_add_f64 v[9:10], v[7:8], -v[11:12]
	v_mul_f64 v[11:12], v[7:8], v[7:8]
	v_add_f64 v[5:6], v[5:6], -v[9:10]
	v_fma_f64 v[9:10], v[7:8], v[7:8], -v[11:12]
	v_add_f64 v[13:14], v[5:6], v[5:6]
	v_fma_f64 v[9:10], v[7:8], v[13:14], v[9:10]
	v_add_f64 v[13:14], v[11:12], v[9:10]
	v_fma_f64 v[15:16], v[13:14], s[66:67], s[4:5]
	v_add_f64 v[11:12], v[13:14], -v[11:12]
	v_mul_f64 v[21:22], v[7:8], v[13:14]
	s_mov_b32 s4, 0xd5df274d
	s_mov_b32 s5, 0x3c8543b0
	v_fma_f64 v[15:16], v[13:14], v[15:16], s[70:71]
	v_add_f64 v[9:10], v[9:10], -v[11:12]
	v_fma_f64 v[15:16], v[13:14], v[15:16], s[82:83]
	v_fma_f64 v[15:16], v[13:14], v[15:16], s[86:87]
	;; [unrolled: 1-line block ×6, first 2 shown]
	v_mul_f64 v[17:18], v[13:14], v[15:16]
	v_fma_f64 v[11:12], v[13:14], v[15:16], -v[17:18]
	v_fma_f64 v[11:12], v[9:10], v[15:16], v[11:12]
	v_add_f64 v[15:16], v[17:18], v[11:12]
	v_add_f64 v[19:20], v[15:16], s[36:37]
	v_add_f64 v[17:18], v[15:16], -v[17:18]
	v_add_f64 v[23:24], v[19:20], s[48:49]
	v_add_f64 v[11:12], v[11:12], -v[17:18]
	v_fma_f64 v[17:18], v[13:14], v[7:8], -v[21:22]
	v_add_f64 v[15:16], v[15:16], -v[23:24]
	v_add_f64 v[11:12], v[11:12], s[4:5]
	v_fma_f64 v[13:14], v[13:14], v[5:6], v[17:18]
	v_ldexp_f64 v[5:6], v[5:6], 1
	s_mov_b32 s4, 0x652b82fe
	s_mov_b32 s5, 0x3ff71547
	v_add_f64 v[11:12], v[11:12], v[15:16]
	v_fma_f64 v[9:10], v[9:10], v[7:8], v[13:14]
	v_ldexp_f64 v[7:8], v[7:8], 1
	v_add_f64 v[13:14], v[19:20], v[11:12]
	v_add_f64 v[15:16], v[21:22], v[9:10]
	v_add_f64 v[17:18], v[19:20], -v[13:14]
	v_mul_f64 v[19:20], v[15:16], v[13:14]
	v_add_f64 v[21:22], v[15:16], -v[21:22]
	v_add_f64 v[11:12], v[11:12], v[17:18]
	v_fma_f64 v[17:18], v[15:16], v[13:14], -v[19:20]
	v_add_f64 v[9:10], v[9:10], -v[21:22]
	v_fma_f64 v[11:12], v[15:16], v[11:12], v[17:18]
	v_fma_f64 v[9:10], v[9:10], v[13:14], v[11:12]
	v_frexp_exp_i32_f64_e32 v13, v[1:2]
	v_add_f64 v[11:12], v[19:20], v[9:10]
	v_subrev_co_ci_u32_e64 v13, null, 0, v13, vcc_lo
	v_cvt_f64_i32_e32 v[13:14], v13
	v_add_f64 v[15:16], v[7:8], v[11:12]
	v_add_f64 v[17:18], v[11:12], -v[19:20]
	v_mul_f64 v[19:20], v[13:14], s[80:81]
	v_add_f64 v[7:8], v[15:16], -v[7:8]
	v_add_f64 v[9:10], v[9:10], -v[17:18]
	v_fma_f64 v[17:18], v[13:14], s[80:81], -v[19:20]
	v_add_f64 v[7:8], v[11:12], -v[7:8]
	v_add_f64 v[5:6], v[5:6], v[9:10]
	v_fma_f64 v[9:10], v[13:14], s[54:55], v[17:18]
	v_add_f64 v[5:6], v[5:6], v[7:8]
	v_add_f64 v[7:8], v[19:20], v[9:10]
	;; [unrolled: 1-line block ×3, first 2 shown]
	v_add_f64 v[19:20], v[7:8], -v[19:20]
	v_add_f64 v[13:14], v[7:8], v[11:12]
	v_add_f64 v[15:16], v[11:12], -v[15:16]
	v_add_f64 v[9:10], v[9:10], -v[19:20]
	;; [unrolled: 1-line block ×6, first 2 shown]
	v_add_f64 v[15:16], v[9:10], v[5:6]
	v_add_f64 v[7:8], v[7:8], -v[21:22]
	v_add_f64 v[7:8], v[11:12], v[7:8]
	v_add_f64 v[11:12], v[15:16], -v[9:10]
	;; [unrolled: 2-line block ×3, first 2 shown]
	v_add_f64 v[5:6], v[5:6], -v[11:12]
	v_add_f64 v[17:18], v[13:14], v[7:8]
	v_add_f64 v[9:10], v[9:10], -v[15:16]
	v_add_f64 v[11:12], v[17:18], -v[13:14]
	v_add_f64 v[5:6], v[5:6], v[9:10]
	v_add_f64 v[7:8], v[7:8], -v[11:12]
	v_add_f64 v[5:6], v[5:6], v[7:8]
	v_add_f64 v[7:8], v[17:18], v[5:6]
	v_add_f64 v[9:10], v[7:8], -v[17:18]
	v_mul_f64 v[11:12], v[3:4], v[7:8]
	v_add_f64 v[5:6], v[5:6], -v[9:10]
	v_fma_f64 v[7:8], v[3:4], v[7:8], -v[11:12]
	v_cmp_class_f64_e64 vcc_lo, v[11:12], 0x204
	v_fma_f64 v[5:6], v[3:4], v[5:6], v[7:8]
	v_add_f64 v[7:8], v[11:12], v[5:6]
	v_cndmask_b32_e32 v10, v8, v12, vcc_lo
	v_cndmask_b32_e32 v9, v7, v11, vcc_lo
	v_add_f64 v[7:8], v[7:8], -v[11:12]
	v_mul_f64 v[13:14], v[9:10], s[4:5]
	s_mov_b32 s4, 0xfca7ab0c
	s_mov_b32 s5, 0x3e928af3
	v_cmp_neq_f64_e64 vcc_lo, 0x7ff00000, |v[9:10]|
	v_add_f64 v[5:6], v[5:6], -v[7:8]
	v_trunc_f64_e32 v[7:8], v[3:4]
	v_rndne_f64_e32 v[13:14], v[13:14]
	v_cndmask_b32_e32 v6, 0, v6, vcc_lo
	v_cndmask_b32_e32 v5, 0, v5, vcc_lo
	v_fma_f64 v[15:16], v[13:14], s[68:69], v[9:10]
	v_cvt_i32_f64_e32 v19, v[13:14]
	s_mov_b32 s68, s103
	v_fma_f64 v[15:16], v[13:14], s[84:85], v[15:16]
	s_mov_b32 s84, s64
	v_fma_f64 v[17:18], v[15:16], s[6:7], s[4:5]
	s_mov_b32 s4, 0x623fde64
	s_mov_b32 s5, 0x3ec71dee
	v_cmp_eq_f64_e64 s6, 0, v[1:2]
	v_cmp_class_f64_e64 s7, v[1:2], 0x204
	v_fma_f64 v[17:18], v[15:16], v[17:18], s[4:5]
	s_mov_b32 s4, 0x7c89e6b0
	s_mov_b32 s5, 0x3efa0199
	v_fma_f64 v[17:18], v[15:16], v[17:18], s[4:5]
	s_mov_b32 s4, 0x14761f6e
	s_mov_b32 s5, 0x3f2a01a0
	;; [unrolled: 3-line block ×7, first 2 shown]
	v_fma_f64 v[17:18], v[15:16], v[17:18], s[4:5]
	v_cmp_nlt_f64_e64 s4, 0x40900000, v[9:10]
	v_cmp_ngt_f64_e64 s5, 0xc090cc00, v[9:10]
	v_fma_f64 v[17:18], v[15:16], v[17:18], 1.0
	s_and_b32 vcc_lo, s5, s4
	v_fma_f64 v[13:14], v[15:16], v[17:18], 1.0
	v_ldexp_f64 v[11:12], v[13:14], v19
	v_mul_f64 v[13:14], v[3:4], 0.5
	v_cndmask_b32_e64 v12, 0x7ff00000, v12, s4
	v_trunc_f64_e32 v[9:10], v[13:14]
	v_cndmask_b32_e32 v11, 0, v11, vcc_lo
	v_cmp_eq_f64_e32 vcc_lo, v[7:8], v[3:4]
	v_cndmask_b32_e64 v12, 0, v12, s5
	v_fma_f64 v[5:6], v[11:12], v[5:6], v[11:12]
	v_cmp_class_f64_e64 s5, v[11:12], 0x204
	v_cmp_neq_f64_e64 s4, v[9:10], v[13:14]
	v_cndmask_b32_e64 v6, v6, v12, s5
	v_cndmask_b32_e64 v5, v5, v11, s5
	v_cmp_gt_f64_e64 s5, 0, v[3:4]
	s_and_b32 s4, vcc_lo, s4
	v_cndmask_b32_e64 v7, 0x3ff00000, v2, s4
	v_cndmask_b32_e64 v8, 0, v2, s4
	v_readlane_b32 s4, v125, 6
	v_bfi_b32 v3, 0x7fffffff, v6, v7
	v_cndmask_b32_e32 v6, 0, v5, vcc_lo
	v_cndmask_b32_e32 v4, 0x7ff80000, v3, vcc_lo
	v_cmp_gt_f64_e32 vcc_lo, 0, v[1:2]
	s_xor_b32 s5, s5, s6
	v_cndmask_b32_e64 v7, 0x7ff00000, 0, s5
	v_bfi_b32 v7, 0x7fffffff, v7, v8
	v_cndmask_b32_e32 v5, v5, v6, vcc_lo
	v_cndmask_b32_e32 v3, v3, v4, vcc_lo
	s_or_b32 vcc_lo, s6, s7
	v_cndmask_b32_e64 v4, v5, 0, vcc_lo
	v_cndmask_b32_e32 v3, v3, v7, vcc_lo
	v_cmp_o_f64_e32 vcc_lo, v[1:2], v[1:2]
	v_cvt_f64_i32_e32 v[0:1], v0
	v_cndmask_b32_e32 v2, 0, v4, vcc_lo
	v_cndmask_b32_e32 v3, 0x7ff80000, v3, vcc_lo
	v_cmp_eq_u32_e32 vcc_lo, s102, v45
	s_add_i32 s102, s102, 1
	v_mul_f64 v[0:1], v[2:3], v[0:1]
	s_or_b32 s4, vcc_lo, s4
	v_fma_f64 v[120:121], v[122:123], v[0:1], v[120:121]
	s_andn2_b32 exec_lo, exec_lo, s4
	s_cbranch_execz .LBB0_272
.LBB0_268:                              ;   Parent Loop BB0_225 Depth=1
                                        ; =>  This Loop Header: Depth=2
                                        ;       Child Loop BB0_270 Depth 3
	v_mov_b32_e32 v122, 0
	v_writelane_b32 v125, s4, 6
	v_mov_b32_e32 v123, 0
	s_mov_b32 s97, exec_lo
	v_readlane_b32 s4, v124, 13
	s_and_b32 s4, s97, s4
	s_mov_b32 exec_lo, s4
	s_cbranch_execz .LBB0_267
; %bb.269:                              ;   in Loop: Header=BB0_268 Depth=2
	v_mov_b32_e32 v122, 0
	v_mov_b32_e32 v123, 0
	;; [unrolled: 1-line block ×3, first 2 shown]
	s_waitcnt vmcnt(0)
	v_mov_b32_e32 v59, v89
	s_mov_b32 s38, 0x924920da
	s_mov_b32 s34, 0x1c7792ce
	;; [unrolled: 1-line block ×19, first 2 shown]
.LBB0_270:                              ;   Parent Loop BB0_225 Depth=1
                                        ;     Parent Loop BB0_268 Depth=2
                                        ; =>    This Inner Loop Header: Depth=3
	v_mov_b32_e32 v31, v40
	v_mov_b32_e32 v0, v58
	v_mov_b32_e32 v1, s99
	s_getpc_b64 s[16:17]
	s_add_u32 s16, s16, _Z13cuda_binomialii@rel32@lo+4
	s_addc_u32 s17, s17, _Z13cuda_binomialii@rel32@hi+12
	s_mov_b64 s[4:5], s[62:63]
	s_mov_b64 s[6:7], s[56:57]
	;; [unrolled: 1-line block ×4, first 2 shown]
	s_mov_b32 s12, s96
	s_mov_b32 s13, s68
	;; [unrolled: 1-line block ×4, first 2 shown]
	s_swappc_b64 s[30:31], s[16:17]
	v_cvt_f64_i32_e32 v[2:3], v42
	s_mov_b32 s16, 0x9999999c
	s_mov_b32 s17, 0x3fd99999
	;; [unrolled: 1-line block ×17, first 2 shown]
	v_cvt_f64_i32_e32 v[0:1], v0
	v_add_nc_u32_e32 v42, -1, v42
	v_readlane_b32 s62, v124, 6
	v_readlane_b32 s56, v124, 4
	v_cndmask_b32_e64 v5, v3, 0x3ff00000, s98
	v_cndmask_b32_e64 v4, v2, 0, s98
	v_readlane_b32 s94, v124, 2
	v_readlane_b32 s90, v124, 0
	v_readlane_b32 s63, v124, 7
	v_readlane_b32 s57, v124, 5
	v_cmp_neq_f64_e32 vcc_lo, 0, v[4:5]
	v_readlane_b32 s95, v124, 3
	v_readlane_b32 s91, v124, 1
	s_add_i32 s99, s99, 1
	v_cndmask_b32_e32 v3, 0x3ff00000, v93, vcc_lo
	v_cndmask_b32_e32 v2, 0, v92, vcc_lo
	v_frexp_mant_f64_e64 v[6:7], |v[2:3]|
	v_frexp_exp_i32_f64_e32 v8, v[2:3]
	v_cmp_gt_f64_e32 vcc_lo, s[36:37], v[6:7]
	v_cndmask_b32_e64 v9, 0, 1, vcc_lo
	v_subrev_co_ci_u32_e64 v24, null, 0, v8, vcc_lo
	v_ldexp_f64 v[6:7], v[6:7], v9
	v_add_f64 v[10:11], v[6:7], 1.0
	v_add_f64 v[8:9], v[6:7], -1.0
	v_add_f64 v[12:13], v[10:11], -1.0
	v_add_f64 v[6:7], v[6:7], -v[12:13]
	v_rcp_f64_e32 v[12:13], v[10:11]
	v_fma_f64 v[14:15], -v[10:11], v[12:13], 1.0
	v_fma_f64 v[12:13], v[14:15], v[12:13], v[12:13]
	v_fma_f64 v[14:15], -v[10:11], v[12:13], 1.0
	v_fma_f64 v[12:13], v[14:15], v[12:13], v[12:13]
	v_mul_f64 v[14:15], v[8:9], v[12:13]
	v_mul_f64 v[16:17], v[10:11], v[14:15]
	v_fma_f64 v[10:11], v[14:15], v[10:11], -v[16:17]
	v_fma_f64 v[6:7], v[14:15], v[6:7], v[10:11]
	v_add_f64 v[10:11], v[16:17], v[6:7]
	v_add_f64 v[18:19], v[8:9], -v[10:11]
	v_add_f64 v[16:17], v[10:11], -v[16:17]
	;; [unrolled: 1-line block ×5, first 2 shown]
	v_add_f64 v[6:7], v[6:7], v[8:9]
	v_add_f64 v[6:7], v[18:19], v[6:7]
	v_mul_f64 v[6:7], v[12:13], v[6:7]
	v_add_f64 v[16:17], v[14:15], v[6:7]
	v_add_f64 v[8:9], v[16:17], -v[14:15]
	v_ldexp_f64 v[12:13], v[16:17], 1
	v_add_f64 v[14:15], v[6:7], -v[8:9]
	v_mul_f64 v[6:7], v[16:17], v[16:17]
	v_add_f64 v[10:11], v[14:15], v[14:15]
	v_fma_f64 v[8:9], v[16:17], v[16:17], -v[6:7]
	v_fma_f64 v[8:9], v[16:17], v[10:11], v[8:9]
	v_add_f64 v[18:19], v[6:7], v[8:9]
	v_add_f64 v[6:7], v[18:19], -v[6:7]
	v_add_f64 v[20:21], v[8:9], -v[6:7]
	v_fma_f64 v[6:7], v[18:19], s[70:71], s[66:67]
	v_fma_f64 v[6:7], v[18:19], v[6:7], s[82:83]
	;; [unrolled: 1-line block ×8, first 2 shown]
	v_cvt_f64_i32_e32 v[6:7], v24
	v_mul_f64 v[24:25], v[16:17], v[18:19]
	v_mul_f64 v[10:11], v[6:7], s[80:81]
	v_fma_f64 v[26:27], v[18:19], v[16:17], -v[24:25]
	v_fma_f64 v[8:9], v[6:7], s[80:81], -v[10:11]
	v_fma_f64 v[6:7], v[6:7], s[54:55], v[8:9]
	v_add_f64 v[8:9], v[10:11], v[6:7]
	v_add_f64 v[10:11], v[8:9], -v[10:11]
	v_add_f64 v[6:7], v[6:7], -v[10:11]
	v_ldexp_f64 v[10:11], v[14:15], 1
	v_fma_f64 v[14:15], v[18:19], v[14:15], v[26:27]
	v_fma_f64 v[14:15], v[20:21], v[16:17], v[14:15]
	v_add_f64 v[16:17], v[24:25], v[14:15]
	v_add_f64 v[24:25], v[16:17], -v[24:25]
	v_add_f64 v[14:15], v[14:15], -v[24:25]
	v_mul_f64 v[24:25], v[18:19], v[22:23]
	v_fma_f64 v[18:19], v[18:19], v[22:23], -v[24:25]
	v_fma_f64 v[18:19], v[20:21], v[22:23], v[18:19]
	v_add_f64 v[22:23], v[24:25], v[18:19]
	v_add_f64 v[20:21], v[22:23], -v[24:25]
	v_add_f64 v[20:21], v[18:19], -v[20:21]
	v_add_f64 v[18:19], v[22:23], s[36:37]
	v_add_f64 v[20:21], v[20:21], s[14:15]
	;; [unrolled: 1-line block ×3, first 2 shown]
	v_add_f64 v[22:23], v[22:23], -v[24:25]
	v_add_f64 v[20:21], v[20:21], v[22:23]
	v_add_f64 v[22:23], v[18:19], v[20:21]
	v_add_f64 v[18:19], v[18:19], -v[22:23]
	v_add_f64 v[18:19], v[20:21], v[18:19]
	v_mul_f64 v[20:21], v[16:17], v[22:23]
	v_fma_f64 v[24:25], v[16:17], v[22:23], -v[20:21]
	v_fma_f64 v[16:17], v[16:17], v[18:19], v[24:25]
	v_fma_f64 v[14:15], v[14:15], v[22:23], v[16:17]
	v_add_f64 v[16:17], v[20:21], v[14:15]
	v_add_f64 v[18:19], v[16:17], -v[20:21]
	v_add_f64 v[14:15], v[14:15], -v[18:19]
	v_add_f64 v[18:19], v[12:13], v[16:17]
	v_add_f64 v[10:11], v[10:11], v[14:15]
	v_add_f64 v[12:13], v[18:19], -v[12:13]
	v_add_f64 v[12:13], v[16:17], -v[12:13]
	v_add_f64 v[10:11], v[10:11], v[12:13]
	v_add_f64 v[12:13], v[18:19], v[10:11]
	v_add_f64 v[14:15], v[12:13], -v[18:19]
	v_add_f64 v[10:11], v[10:11], -v[14:15]
	v_add_f64 v[14:15], v[8:9], v[12:13]
	v_add_f64 v[16:17], v[14:15], -v[8:9]
	v_add_f64 v[18:19], v[14:15], -v[16:17]
	;; [unrolled: 1-line block ×4, first 2 shown]
	v_add_f64 v[8:9], v[12:13], v[8:9]
	v_add_f64 v[12:13], v[6:7], v[10:11]
	v_add_f64 v[16:17], v[12:13], -v[6:7]
	v_add_f64 v[8:9], v[12:13], v[8:9]
	v_add_f64 v[18:19], v[12:13], -v[16:17]
	v_add_f64 v[10:11], v[10:11], -v[16:17]
	;; [unrolled: 1-line block ×3, first 2 shown]
	v_add_f64 v[6:7], v[10:11], v[6:7]
	v_add_f64 v[10:11], v[14:15], v[8:9]
	v_add_f64 v[12:13], v[10:11], -v[14:15]
	v_add_f64 v[8:9], v[8:9], -v[12:13]
	v_add_f64 v[6:7], v[6:7], v[8:9]
	v_add_f64 v[8:9], v[10:11], v[6:7]
	v_add_f64 v[10:11], v[8:9], -v[10:11]
	v_add_f64 v[6:7], v[6:7], -v[10:11]
	v_mul_f64 v[10:11], v[4:5], v[8:9]
	v_fma_f64 v[8:9], v[4:5], v[8:9], -v[10:11]
	v_cmp_class_f64_e64 vcc_lo, v[10:11], 0x204
	v_fma_f64 v[6:7], v[4:5], v[6:7], v[8:9]
	v_add_f64 v[8:9], v[10:11], v[6:7]
	v_add_f64 v[12:13], v[8:9], -v[10:11]
	v_cndmask_b32_e32 v9, v9, v11, vcc_lo
	v_cndmask_b32_e32 v8, v8, v10, vcc_lo
	v_mul_f64 v[10:11], v[8:9], s[4:5]
	s_mov_b32 s4, 0x14761f6e
	s_mov_b32 s5, 0x3f2a01a0
	v_cmp_neq_f64_e64 vcc_lo, 0x7ff00000, |v[8:9]|
	v_add_f64 v[6:7], v[6:7], -v[12:13]
	v_rndne_f64_e32 v[10:11], v[10:11]
	v_cndmask_b32_e32 v7, 0, v7, vcc_lo
	v_cndmask_b32_e32 v6, 0, v6, vcc_lo
	v_cmp_nlt_f64_e32 vcc_lo, 0x40900000, v[8:9]
	v_fma_f64 v[12:13], v[10:11], s[68:69], v[8:9]
	s_mov_b32 s68, s103
	v_fma_f64 v[12:13], v[10:11], s[84:85], v[12:13]
	v_cvt_i32_f64_e32 v10, v[10:11]
	s_mov_b32 s84, s64
	v_fma_f64 v[14:15], v[12:13], s[8:9], s[6:7]
	s_mov_b32 s6, 0x1852b7b0
	s_mov_b32 s7, 0x3f56c16c
	;; [unrolled: 1-line block ×4, first 2 shown]
	v_fma_f64 v[14:15], v[12:13], v[14:15], s[10:11]
	s_mov_b32 s10, 0x555502a1
	s_mov_b32 s11, 0x3fa55555
	v_fma_f64 v[14:15], v[12:13], v[14:15], s[12:13]
	s_mov_b32 s12, 0x55555511
	s_mov_b32 s13, 0x3fc55555
	;; [unrolled: 3-line block ×3, first 2 shown]
	v_fma_f64 v[14:15], v[12:13], v[14:15], s[6:7]
	v_cmp_gt_f64_e64 s6, 0, v[4:5]
	v_fma_f64 v[14:15], v[12:13], v[14:15], s[8:9]
	v_fma_f64 v[14:15], v[12:13], v[14:15], s[10:11]
	;; [unrolled: 1-line block ×4, first 2 shown]
	v_cmp_ngt_f64_e64 s4, 0xc090cc00, v[8:9]
	v_cmp_gt_f64_e64 s5, 0, v[2:3]
	v_fma_f64 v[14:15], v[12:13], v[14:15], 1.0
	v_fma_f64 v[12:13], v[12:13], v[14:15], 1.0
	v_ldexp_f64 v[10:11], v[12:13], v10
	v_cndmask_b32_e32 v11, 0x7ff00000, v11, vcc_lo
	s_and_b32 vcc_lo, s4, vcc_lo
	v_cndmask_b32_e32 v8, 0, v10, vcc_lo
	v_cndmask_b32_e64 v9, 0, v11, s4
	v_fma_f64 v[6:7], v[8:9], v[6:7], v[8:9]
	v_cmp_class_f64_e64 vcc_lo, v[8:9], 0x204
	v_cndmask_b32_e32 v10, v6, v8, vcc_lo
	v_cndmask_b32_e32 v11, v7, v9, vcc_lo
	v_trunc_f64_e32 v[6:7], v[4:5]
	v_cmp_eq_f64_e32 vcc_lo, v[6:7], v[4:5]
	v_mul_f64 v[6:7], v[4:5], 0.5
	v_trunc_f64_e32 v[8:9], v[6:7]
	v_cmp_neq_f64_e64 s4, v[8:9], v[6:7]
	v_cndmask_b32_e32 v8, 0, v10, vcc_lo
	v_cndmask_b32_e64 v8, v10, v8, s5
	s_and_b32 s4, vcc_lo, s4
	v_cndmask_b32_e64 v6, 0x3ff00000, v3, s4
	v_cndmask_b32_e64 v5, 0, v3, s4
	v_bfi_b32 v6, 0x7fffffff, v11, v6
	v_cndmask_b32_e32 v7, 0x7ff80000, v6, vcc_lo
	v_cmp_eq_f64_e32 vcc_lo, 0, v[2:3]
	v_cndmask_b32_e64 v6, v6, v7, s5
	v_cmp_class_f64_e64 s5, v[2:3], 0x204
	s_xor_b32 s6, s6, vcc_lo
	v_cndmask_b32_e64 v4, 0x7ff00000, 0, s6
	s_or_b32 s5, vcc_lo, s5
	v_cmp_o_f64_e32 vcc_lo, v[2:3], v[2:3]
	v_bfi_b32 v4, 0x7fffffff, v4, v5
	v_cndmask_b32_e64 v5, v8, 0, s5
	v_cndmask_b32_e64 v4, v6, v4, s5
	v_cndmask_b32_e32 v2, 0, v5, vcc_lo
	v_cndmask_b32_e32 v3, 0x7ff80000, v4, vcc_lo
	v_cmp_eq_u32_e32 vcc_lo, -1, v42
	v_mul_f64 v[0:1], v[2:3], v[0:1]
	s_clause 0x1
	buffer_load_dword v2, v59, s[0:3], 0 offen
	buffer_load_dword v3, v59, s[0:3], 0 offen offset:4
	v_add_nc_u32_e32 v59, 56, v59
	s_or_b32 s101, vcc_lo, s101
	s_waitcnt vmcnt(0)
	v_fma_f64 v[122:123], v[2:3], v[0:1], v[122:123]
	s_andn2_b32 exec_lo, exec_lo, s101
	s_cbranch_execnz .LBB0_270
; %bb.271:                              ;   in Loop: Header=BB0_268 Depth=2
	s_or_b32 exec_lo, exec_lo, s101
	s_mov_b32 s66, 0x4222de17
	s_mov_b32 s70, 0x3abe935a
	;; [unrolled: 1-line block ×17, first 2 shown]
	s_branch .LBB0_267
.LBB0_272:                              ;   in Loop: Header=BB0_225 Depth=1
	s_or_b32 exec_lo, exec_lo, s4
	v_readlane_b32 s12, v124, 31
	v_readlane_b32 s13, v125, 0
	;; [unrolled: 1-line block ×4, first 2 shown]
.LBB0_273:                              ;   in Loop: Header=BB0_225 Depth=1
	s_or_b32 exec_lo, exec_lo, s5
	s_clause 0x3
	buffer_load_dword v0, off, s[0:3], s33 offset:812
	buffer_load_dword v1, off, s[0:3], s33 offset:816
	;; [unrolled: 1-line block ×4, first 2 shown]
	s_waitcnt vmcnt(2)
	v_mul_f64 v[0:1], v[0:1], v[74:75]
	v_add_f64 v[0:1], v[0:1], v[0:1]
	s_waitcnt vmcnt(0)
	v_fma_f64 v[2:3], v[2:3], v[108:109], v[0:1]
	s_clause 0x1
	buffer_load_dword v0, off, s[0:3], s33 offset:712
	buffer_load_dword v1, off, s[0:3], s33 offset:716
	s_waitcnt vmcnt(0)
	buffer_store_dword v1, off, s[0:3], s33 offset:308
	buffer_store_dword v0, off, s[0:3], s33 offset:304
	s_mov_b32 s4, exec_lo
	v_readlane_b32 s5, v124, 25
	s_and_b32 s5, s4, s5
	s_mov_b32 exec_lo, s5
	s_cbranch_execz .LBB0_275
; %bb.274:                              ;   in Loop: Header=BB0_225 Depth=1
	s_clause 0x1
	buffer_load_dword v0, off, s[0:3], s33 offset:712
	buffer_load_dword v1, off, s[0:3], s33 offset:716
	s_waitcnt vmcnt(0)
	v_mul_f64 v[0:1], v[0:1], v[2:3]
	buffer_store_dword v1, off, s[0:3], s33 offset:364
	buffer_store_dword v0, off, s[0:3], s33 offset:360
.LBB0_275:                              ;   in Loop: Header=BB0_225 Depth=1
	s_or_b32 exec_lo, exec_lo, s4
	s_clause 0x3
	buffer_load_dword v0, off, s[0:3], s33 offset:820
	buffer_load_dword v1, off, s[0:3], s33 offset:824
	buffer_load_dword v4, off, s[0:3], s33 offset:772
	buffer_load_dword v5, off, s[0:3], s33 offset:776
	s_waitcnt vmcnt(2)
	v_mul_f64 v[0:1], v[0:1], v[74:75]
	v_add_f64 v[0:1], v[0:1], v[0:1]
	s_waitcnt vmcnt(0)
	v_fma_f64 v[0:1], v[4:5], v[108:109], v[0:1]
	s_mov_b32 s4, exec_lo
	v_readlane_b32 s5, v124, 26
	s_and_b32 s5, s4, s5
	s_mov_b32 exec_lo, s5
	s_cbranch_execz .LBB0_277
; %bb.276:                              ;   in Loop: Header=BB0_225 Depth=1
	s_clause 0x1
	buffer_load_dword v4, off, s[0:3], s33 offset:712
	buffer_load_dword v5, off, s[0:3], s33 offset:716
	s_waitcnt vmcnt(0)
	v_mul_f64 v[4:5], v[4:5], v[0:1]
	buffer_store_dword v5, off, s[0:3], s33 offset:316
	buffer_store_dword v4, off, s[0:3], s33 offset:312
.LBB0_277:                              ;   in Loop: Header=BB0_225 Depth=1
	s_or_b32 exec_lo, exec_lo, s4
	s_mov_b32 s4, exec_lo
	v_readlane_b32 s5, v124, 18
	s_and_b32 s5, s4, s5
	s_mov_b32 exec_lo, s5
	s_cbranch_execz .LBB0_280
; %bb.278:                              ;   in Loop: Header=BB0_225 Depth=1
	s_clause 0x1
	buffer_load_dword v4, off, s[0:3], s33 offset:360
	buffer_load_dword v5, off, s[0:3], s33 offset:364
	s_lshr_b32 s5, s33, 5
	s_mov_b32 s6, 1
	s_addk_i32 s5, 0x130
	s_mov_b32 s7, 0
	.p2align	6
.LBB0_279:                              ;   Parent Loop BB0_225 Depth=1
                                        ; =>  This Inner Loop Header: Depth=2
	v_mov_b32_e32 v10, s5
	v_cvt_f64_i32_e32 v[8:9], s6
	s_add_i32 s6, s6, 1
	s_add_i32 s5, s5, 56
	v_cmp_eq_u32_e32 vcc_lo, s6, v79
	s_clause 0x1
	buffer_load_dword v6, v10, s[0:3], 0 offen
	buffer_load_dword v7, v10, s[0:3], 0 offen offset:4
	s_or_b32 s7, vcc_lo, s7
	v_mul_f64 v[8:9], v[106:107], v[8:9]
	s_waitcnt vmcnt(0)
	v_mul_f64 v[6:7], v[6:7], v[8:9]
	v_fma_f64 v[4:5], v[2:3], v[4:5], v[6:7]
	buffer_store_dword v5, v10, s[0:3], 0 offen offset:116
	buffer_store_dword v4, v10, s[0:3], 0 offen offset:112
	s_andn2_b32 exec_lo, exec_lo, s7
	s_cbranch_execnz .LBB0_279
.LBB0_280:                              ;   in Loop: Header=BB0_225 Depth=1
	s_or_b32 exec_lo, exec_lo, s4
	s_and_saveexec_b32 s4, s15
	s_cbranch_execz .LBB0_283
; %bb.281:                              ;   in Loop: Header=BB0_225 Depth=1
	s_clause 0x1
	buffer_load_dword v2, off, s[0:3], s33 offset:312
	buffer_load_dword v3, off, s[0:3], s33 offset:316
	s_lshr_b32 s5, s33, 5
	s_mov_b32 s6, 1
	s_addk_i32 s5, 0x130
	s_mov_b32 s7, 0
	.p2align	6
.LBB0_282:                              ;   Parent Loop BB0_225 Depth=1
                                        ; =>  This Inner Loop Header: Depth=2
	v_mov_b32_e32 v8, s5
	v_cvt_f64_i32_e32 v[6:7], s6
	s_add_i32 s6, s6, 1
	s_add_i32 s5, s5, 8
	v_cmp_eq_u32_e32 vcc_lo, s6, v88
	s_clause 0x1
	buffer_load_dword v4, v8, s[0:3], 0 offen
	buffer_load_dword v5, v8, s[0:3], 0 offen offset:4
	s_or_b32 s7, vcc_lo, s7
	v_mul_f64 v[6:7], v[104:105], v[6:7]
	s_waitcnt vmcnt(0)
	v_mul_f64 v[4:5], v[4:5], v[6:7]
	v_fma_f64 v[2:3], v[0:1], v[2:3], v[4:5]
	buffer_store_dword v3, v8, s[0:3], 0 offen offset:20
	buffer_store_dword v2, v8, s[0:3], 0 offen offset:16
	s_andn2_b32 exec_lo, exec_lo, s7
	s_cbranch_execnz .LBB0_282
.LBB0_283:                              ;   in Loop: Header=BB0_225 Depth=1
	s_or_b32 exec_lo, exec_lo, s4
	s_mov_b32 s4, exec_lo
	v_readlane_b32 s5, v124, 27
	s_and_b32 s5, s4, s5
	s_mov_b32 exec_lo, s5
	s_cbranch_execz .LBB0_289
; %bb.284:                              ;   in Loop: Header=BB0_225 Depth=1
	v_mov_b32_e32 v2, 0
	v_mov_b32_e32 v3, 0x3ff00000
	v_readlane_b32 s6, v124, 9
	s_mov_b32 s7, 1
	s_mov_b32 s5, 0
	s_branch .LBB0_286
.LBB0_285:                              ;   in Loop: Header=BB0_286 Depth=2
	s_or_b32 exec_lo, exec_lo, s8
	v_add_f64 v[2:3], v[2:3], 1.0
	v_cmp_eq_u32_e32 vcc_lo, s7, v79
	s_add_i32 s7, s7, 1
	s_add_i32 s6, s6, 56
	s_or_b32 s5, vcc_lo, s5
	s_andn2_b32 exec_lo, exec_lo, s5
	s_cbranch_execz .LBB0_289
.LBB0_286:                              ;   Parent Loop BB0_225 Depth=1
                                        ; =>  This Loop Header: Depth=2
                                        ;       Child Loop BB0_288 Depth 3
	s_mul_i32 s8, s7, 56
	s_lshr_b32 s9, s33, 5
	s_add_i32 s8, s9, s8
	s_addk_i32 s8, 0x130
	v_mov_b32_e32 v10, s8
	s_sub_i32 s8, s8, 56
	s_clause 0x1
	buffer_load_dword v6, v10, s[0:3], 0 offen
	buffer_load_dword v7, v10, s[0:3], 0 offen offset:4
	v_mov_b32_e32 v4, s8
	s_clause 0x1
	buffer_load_dword v8, v4, s[0:3], 0 offen
	buffer_load_dword v9, v4, s[0:3], 0 offen offset:4
	v_mul_f64 v[4:5], v[74:75], v[2:3]
	s_waitcnt vmcnt(2)
	v_mul_f64 v[6:7], v[0:1], v[6:7]
	s_waitcnt vmcnt(0)
	v_fma_f64 v[6:7], v[8:9], v[4:5], v[6:7]
	buffer_store_dword v7, v10, s[0:3], 0 offen offset:12
	buffer_store_dword v6, v10, s[0:3], 0 offen offset:8
	s_and_saveexec_b32 s8, s15
	s_cbranch_execz .LBB0_285
; %bb.287:                              ;   in Loop: Header=BB0_286 Depth=2
	s_mov_b32 s9, 1
	s_mov_b32 s10, 0
	;; [unrolled: 1-line block ×3, first 2 shown]
	.p2align	6
.LBB0_288:                              ;   Parent Loop BB0_225 Depth=1
                                        ;     Parent Loop BB0_286 Depth=2
                                        ; =>    This Inner Loop Header: Depth=3
	v_mov_b32_e32 v14, s11
	v_cvt_f64_i32_e32 v[12:13], s9
	s_add_i32 s9, s9, 1
	s_add_i32 s11, s11, 8
	v_cmp_eq_u32_e32 vcc_lo, s9, v88
	s_clause 0x3
	buffer_load_dword v8, v14, s[0:3], 0 offen offset:48
	buffer_load_dword v9, v14, s[0:3], 0 offen offset:52
	buffer_load_dword v10, v14, s[0:3], 0 offen
	buffer_load_dword v11, v14, s[0:3], 0 offen offset:4
	s_or_b32 s10, vcc_lo, s10
	v_mul_f64 v[12:13], v[104:105], v[12:13]
	s_waitcnt vmcnt(2)
	v_mul_f64 v[8:9], v[8:9], v[12:13]
	s_waitcnt vmcnt(0)
	v_fma_f64 v[8:9], v[4:5], v[10:11], v[8:9]
	v_fma_f64 v[6:7], v[0:1], v[6:7], v[8:9]
	buffer_store_dword v7, v14, s[0:3], 0 offen offset:68
	buffer_store_dword v6, v14, s[0:3], 0 offen offset:64
	s_andn2_b32 exec_lo, exec_lo, s10
	s_cbranch_execnz .LBB0_288
	s_branch .LBB0_285
.LBB0_289:                              ;   in Loop: Header=BB0_225 Depth=1
	s_or_b32 exec_lo, exec_lo, s4
	v_mov_b32_e32 v74, 0
	v_mov_b32_e32 v75, 0
	s_mov_b32 s5, exec_lo
	v_readlane_b32 s4, v124, 14
	s_and_b32 s4, s5, s4
	s_mov_b32 exec_lo, s4
	s_cbranch_execz .LBB0_224
; %bb.290:                              ;   in Loop: Header=BB0_225 Depth=1
	buffer_load_dword v89, off, s[0:3], s33 offset:852 ; 4-byte Folded Reload
	v_mov_b32_e32 v74, 0
	v_writelane_b32 v125, s5, 5
	v_mov_b32_e32 v75, 0
	s_mov_b32 s4, 0
	s_mov_b32 s104, 0
	s_branch .LBB0_292
.LBB0_291:                              ;   in Loop: Header=BB0_292 Depth=2
	s_or_b32 exec_lo, exec_lo, s97
	v_mov_b32_e32 v31, v40
	v_mov_b32_e32 v0, v46
	;; [unrolled: 1-line block ×3, first 2 shown]
	s_getpc_b64 s[16:17]
	s_add_u32 s16, s16, _Z13cuda_binomialii@rel32@lo+4
	s_addc_u32 s17, s17, _Z13cuda_binomialii@rel32@hi+12
	s_mov_b64 s[4:5], s[62:63]
	s_mov_b64 s[6:7], s[56:57]
	;; [unrolled: 1-line block ×4, first 2 shown]
	s_mov_b32 s12, s96
	s_mov_b32 s13, s68
	;; [unrolled: 1-line block ×4, first 2 shown]
	s_swappc_b64 s[30:31], s[16:17]
	v_subrev_nc_u32_e32 v1, s104, v46
	v_readlane_b32 s4, v124, 30
	s_mov_b32 s48, s36
	s_mov_b32 s68, s80
	;; [unrolled: 1-line block ×3, first 2 shown]
	v_cvt_f64_i32_e32 v[1:2], v1
	s_mov_b32 s6, 0x6a5dcb37
	s_mov_b32 s7, 0x3e5ade15
	v_readlane_b32 s62, v124, 6
	v_readlane_b32 s56, v124, 4
	v_readlane_b32 s94, v124, 2
	v_readlane_b32 s90, v124, 0
	v_readlane_b32 s63, v124, 7
	v_readlane_b32 s57, v124, 5
	v_readlane_b32 s95, v124, 3
	v_readlane_b32 s91, v124, 1
	v_add_nc_u32_e32 v89, 8, v89
	v_cndmask_b32_e64 v4, v2, 0x3ff00000, s4
	v_cndmask_b32_e64 v3, v1, 0, s4
	s_mov_b32 s4, 0x968915a9
	s_mov_b32 s5, 0x3fba6564
	v_cmp_neq_f64_e32 vcc_lo, 0, v[3:4]
	v_cndmask_b32_e32 v2, 0x3ff00000, v73, vcc_lo
	v_cndmask_b32_e32 v1, 0, v72, vcc_lo
	v_frexp_mant_f64_e64 v[5:6], |v[1:2]|
	v_cmp_gt_f64_e32 vcc_lo, s[36:37], v[5:6]
	v_cndmask_b32_e64 v7, 0, 1, vcc_lo
	v_ldexp_f64 v[5:6], v[5:6], v7
	v_add_f64 v[7:8], v[5:6], 1.0
	v_add_f64 v[13:14], v[5:6], -1.0
	v_rcp_f64_e32 v[9:10], v[7:8]
	v_add_f64 v[15:16], v[7:8], -1.0
	v_add_f64 v[5:6], v[5:6], -v[15:16]
	v_fma_f64 v[11:12], -v[7:8], v[9:10], 1.0
	v_fma_f64 v[9:10], v[11:12], v[9:10], v[9:10]
	v_fma_f64 v[11:12], -v[7:8], v[9:10], 1.0
	v_fma_f64 v[9:10], v[11:12], v[9:10], v[9:10]
	v_mul_f64 v[11:12], v[13:14], v[9:10]
	v_mul_f64 v[17:18], v[7:8], v[11:12]
	v_fma_f64 v[7:8], v[11:12], v[7:8], -v[17:18]
	v_fma_f64 v[5:6], v[11:12], v[5:6], v[7:8]
	v_add_f64 v[7:8], v[17:18], v[5:6]
	v_add_f64 v[15:16], v[13:14], -v[7:8]
	v_add_f64 v[17:18], v[7:8], -v[17:18]
	;; [unrolled: 1-line block ×5, first 2 shown]
	v_add_f64 v[5:6], v[5:6], v[7:8]
	v_add_f64 v[5:6], v[15:16], v[5:6]
	v_mul_f64 v[5:6], v[9:10], v[5:6]
	v_add_f64 v[7:8], v[11:12], v[5:6]
	v_add_f64 v[9:10], v[7:8], -v[11:12]
	v_mul_f64 v[11:12], v[7:8], v[7:8]
	v_add_f64 v[5:6], v[5:6], -v[9:10]
	v_fma_f64 v[9:10], v[7:8], v[7:8], -v[11:12]
	v_add_f64 v[13:14], v[5:6], v[5:6]
	v_fma_f64 v[9:10], v[7:8], v[13:14], v[9:10]
	v_add_f64 v[13:14], v[11:12], v[9:10]
	v_fma_f64 v[15:16], v[13:14], s[66:67], s[4:5]
	v_add_f64 v[11:12], v[13:14], -v[11:12]
	v_mul_f64 v[21:22], v[7:8], v[13:14]
	s_mov_b32 s4, 0xd5df274d
	s_mov_b32 s5, 0x3c8543b0
	v_fma_f64 v[15:16], v[13:14], v[15:16], s[70:71]
	v_add_f64 v[9:10], v[9:10], -v[11:12]
	v_fma_f64 v[15:16], v[13:14], v[15:16], s[82:83]
	v_fma_f64 v[15:16], v[13:14], v[15:16], s[86:87]
	;; [unrolled: 1-line block ×6, first 2 shown]
	v_mul_f64 v[17:18], v[13:14], v[15:16]
	v_fma_f64 v[11:12], v[13:14], v[15:16], -v[17:18]
	v_fma_f64 v[11:12], v[9:10], v[15:16], v[11:12]
	v_add_f64 v[15:16], v[17:18], v[11:12]
	v_add_f64 v[19:20], v[15:16], s[36:37]
	v_add_f64 v[17:18], v[15:16], -v[17:18]
	v_add_f64 v[23:24], v[19:20], s[48:49]
	v_add_f64 v[11:12], v[11:12], -v[17:18]
	v_fma_f64 v[17:18], v[13:14], v[7:8], -v[21:22]
	v_add_f64 v[15:16], v[15:16], -v[23:24]
	v_add_f64 v[11:12], v[11:12], s[4:5]
	v_fma_f64 v[13:14], v[13:14], v[5:6], v[17:18]
	v_ldexp_f64 v[5:6], v[5:6], 1
	s_mov_b32 s4, 0x652b82fe
	s_mov_b32 s5, 0x3ff71547
	v_add_f64 v[11:12], v[11:12], v[15:16]
	v_fma_f64 v[9:10], v[9:10], v[7:8], v[13:14]
	v_ldexp_f64 v[7:8], v[7:8], 1
	v_add_f64 v[13:14], v[19:20], v[11:12]
	v_add_f64 v[15:16], v[21:22], v[9:10]
	v_add_f64 v[17:18], v[19:20], -v[13:14]
	v_mul_f64 v[19:20], v[15:16], v[13:14]
	v_add_f64 v[21:22], v[15:16], -v[21:22]
	v_add_f64 v[11:12], v[11:12], v[17:18]
	v_fma_f64 v[17:18], v[15:16], v[13:14], -v[19:20]
	v_add_f64 v[9:10], v[9:10], -v[21:22]
	v_fma_f64 v[11:12], v[15:16], v[11:12], v[17:18]
	v_fma_f64 v[9:10], v[9:10], v[13:14], v[11:12]
	v_frexp_exp_i32_f64_e32 v13, v[1:2]
	v_add_f64 v[11:12], v[19:20], v[9:10]
	v_subrev_co_ci_u32_e64 v13, null, 0, v13, vcc_lo
	v_cvt_f64_i32_e32 v[13:14], v13
	v_add_f64 v[15:16], v[7:8], v[11:12]
	v_add_f64 v[17:18], v[11:12], -v[19:20]
	v_mul_f64 v[19:20], v[13:14], s[80:81]
	v_add_f64 v[7:8], v[15:16], -v[7:8]
	v_add_f64 v[9:10], v[9:10], -v[17:18]
	v_fma_f64 v[17:18], v[13:14], s[80:81], -v[19:20]
	v_add_f64 v[7:8], v[11:12], -v[7:8]
	v_add_f64 v[5:6], v[5:6], v[9:10]
	v_fma_f64 v[9:10], v[13:14], s[54:55], v[17:18]
	v_add_f64 v[5:6], v[5:6], v[7:8]
	v_add_f64 v[7:8], v[19:20], v[9:10]
	;; [unrolled: 1-line block ×3, first 2 shown]
	v_add_f64 v[19:20], v[7:8], -v[19:20]
	v_add_f64 v[13:14], v[7:8], v[11:12]
	v_add_f64 v[15:16], v[11:12], -v[15:16]
	v_add_f64 v[9:10], v[9:10], -v[19:20]
	;; [unrolled: 1-line block ×6, first 2 shown]
	v_add_f64 v[15:16], v[9:10], v[5:6]
	v_add_f64 v[7:8], v[7:8], -v[21:22]
	v_add_f64 v[7:8], v[11:12], v[7:8]
	v_add_f64 v[11:12], v[15:16], -v[9:10]
	;; [unrolled: 2-line block ×3, first 2 shown]
	v_add_f64 v[5:6], v[5:6], -v[11:12]
	v_add_f64 v[17:18], v[13:14], v[7:8]
	v_add_f64 v[9:10], v[9:10], -v[15:16]
	v_add_f64 v[11:12], v[17:18], -v[13:14]
	v_add_f64 v[5:6], v[5:6], v[9:10]
	v_add_f64 v[7:8], v[7:8], -v[11:12]
	v_add_f64 v[5:6], v[5:6], v[7:8]
	v_add_f64 v[7:8], v[17:18], v[5:6]
	v_add_f64 v[9:10], v[7:8], -v[17:18]
	v_mul_f64 v[11:12], v[3:4], v[7:8]
	v_add_f64 v[5:6], v[5:6], -v[9:10]
	v_fma_f64 v[7:8], v[3:4], v[7:8], -v[11:12]
	v_cmp_class_f64_e64 vcc_lo, v[11:12], 0x204
	v_fma_f64 v[5:6], v[3:4], v[5:6], v[7:8]
	v_add_f64 v[7:8], v[11:12], v[5:6]
	v_cndmask_b32_e32 v10, v8, v12, vcc_lo
	v_cndmask_b32_e32 v9, v7, v11, vcc_lo
	v_add_f64 v[7:8], v[7:8], -v[11:12]
	v_mul_f64 v[13:14], v[9:10], s[4:5]
	s_mov_b32 s4, 0xfca7ab0c
	s_mov_b32 s5, 0x3e928af3
	v_cmp_neq_f64_e64 vcc_lo, 0x7ff00000, |v[9:10]|
	v_add_f64 v[5:6], v[5:6], -v[7:8]
	v_trunc_f64_e32 v[7:8], v[3:4]
	v_rndne_f64_e32 v[13:14], v[13:14]
	v_cndmask_b32_e32 v6, 0, v6, vcc_lo
	v_cndmask_b32_e32 v5, 0, v5, vcc_lo
	v_fma_f64 v[15:16], v[13:14], s[68:69], v[9:10]
	v_cvt_i32_f64_e32 v19, v[13:14]
	s_mov_b32 s68, s103
	v_fma_f64 v[15:16], v[13:14], s[84:85], v[15:16]
	s_mov_b32 s84, s64
	v_fma_f64 v[17:18], v[15:16], s[6:7], s[4:5]
	s_mov_b32 s4, 0x623fde64
	s_mov_b32 s5, 0x3ec71dee
	v_cmp_eq_f64_e64 s6, 0, v[1:2]
	v_cmp_class_f64_e64 s7, v[1:2], 0x204
	v_fma_f64 v[17:18], v[15:16], v[17:18], s[4:5]
	s_mov_b32 s4, 0x7c89e6b0
	s_mov_b32 s5, 0x3efa0199
	v_fma_f64 v[17:18], v[15:16], v[17:18], s[4:5]
	s_mov_b32 s4, 0x14761f6e
	s_mov_b32 s5, 0x3f2a01a0
	;; [unrolled: 3-line block ×7, first 2 shown]
	v_fma_f64 v[17:18], v[15:16], v[17:18], s[4:5]
	v_cmp_nlt_f64_e64 s4, 0x40900000, v[9:10]
	v_cmp_ngt_f64_e64 s5, 0xc090cc00, v[9:10]
	v_fma_f64 v[17:18], v[15:16], v[17:18], 1.0
	s_and_b32 vcc_lo, s5, s4
	v_fma_f64 v[13:14], v[15:16], v[17:18], 1.0
	v_ldexp_f64 v[11:12], v[13:14], v19
	v_mul_f64 v[13:14], v[3:4], 0.5
	v_cndmask_b32_e64 v12, 0x7ff00000, v12, s4
	v_trunc_f64_e32 v[9:10], v[13:14]
	v_cndmask_b32_e32 v11, 0, v11, vcc_lo
	v_cmp_eq_f64_e32 vcc_lo, v[7:8], v[3:4]
	v_cndmask_b32_e64 v12, 0, v12, s5
	v_fma_f64 v[5:6], v[11:12], v[5:6], v[11:12]
	v_cmp_class_f64_e64 s5, v[11:12], 0x204
	v_cmp_neq_f64_e64 s4, v[9:10], v[13:14]
	v_cndmask_b32_e64 v6, v6, v12, s5
	v_cndmask_b32_e64 v5, v5, v11, s5
	v_cmp_gt_f64_e64 s5, 0, v[3:4]
	s_and_b32 s4, vcc_lo, s4
	v_cndmask_b32_e64 v7, 0x3ff00000, v2, s4
	v_cndmask_b32_e64 v8, 0, v2, s4
	v_readlane_b32 s4, v125, 6
	v_bfi_b32 v3, 0x7fffffff, v6, v7
	v_cndmask_b32_e32 v6, 0, v5, vcc_lo
	v_cndmask_b32_e32 v4, 0x7ff80000, v3, vcc_lo
	v_cmp_gt_f64_e32 vcc_lo, 0, v[1:2]
	s_xor_b32 s5, s5, s6
	v_cndmask_b32_e64 v7, 0x7ff00000, 0, s5
	v_bfi_b32 v7, 0x7fffffff, v7, v8
	v_cndmask_b32_e32 v5, v5, v6, vcc_lo
	v_cndmask_b32_e32 v3, v3, v4, vcc_lo
	s_or_b32 vcc_lo, s6, s7
	v_cndmask_b32_e64 v4, v5, 0, vcc_lo
	v_cndmask_b32_e32 v3, v3, v7, vcc_lo
	v_cmp_o_f64_e32 vcc_lo, v[1:2], v[1:2]
	v_cvt_f64_i32_e32 v[0:1], v0
	v_cndmask_b32_e32 v2, 0, v4, vcc_lo
	v_cndmask_b32_e32 v3, 0x7ff80000, v3, vcc_lo
	v_cmp_eq_u32_e32 vcc_lo, s104, v46
	s_add_i32 s104, s104, 1
	v_mul_f64 v[0:1], v[2:3], v[0:1]
	s_or_b32 s4, vcc_lo, s4
	v_fma_f64 v[74:75], v[104:105], v[0:1], v[74:75]
	s_andn2_b32 exec_lo, exec_lo, s4
	s_cbranch_execz .LBB0_223
.LBB0_292:                              ;   Parent Loop BB0_225 Depth=1
                                        ; =>  This Loop Header: Depth=2
                                        ;       Child Loop BB0_294 Depth 3
	v_mov_b32_e32 v104, 0
	v_writelane_b32 v125, s4, 6
	v_mov_b32_e32 v105, 0
	s_mov_b32 s97, exec_lo
	v_readlane_b32 s4, v124, 15
	s_and_b32 s4, s97, s4
	s_mov_b32 exec_lo, s4
	s_cbranch_execz .LBB0_291
; %bb.293:                              ;   in Loop: Header=BB0_292 Depth=2
	v_mov_b32_e32 v104, 0
	v_mov_b32_e32 v105, 0
	;; [unrolled: 1-line block ×3, first 2 shown]
	s_waitcnt vmcnt(0)
	v_mov_b32_e32 v59, v89
	s_mov_b32 s38, 0x924920da
	s_mov_b32 s34, 0x1c7792ce
	;; [unrolled: 1-line block ×19, first 2 shown]
.LBB0_294:                              ;   Parent Loop BB0_225 Depth=1
                                        ;     Parent Loop BB0_292 Depth=2
                                        ; =>    This Inner Loop Header: Depth=3
	v_mov_b32_e32 v31, v40
	v_mov_b32_e32 v0, v43
	;; [unrolled: 1-line block ×3, first 2 shown]
	s_getpc_b64 s[16:17]
	s_add_u32 s16, s16, _Z13cuda_binomialii@rel32@lo+4
	s_addc_u32 s17, s17, _Z13cuda_binomialii@rel32@hi+12
	s_mov_b64 s[4:5], s[62:63]
	s_mov_b64 s[6:7], s[56:57]
	;; [unrolled: 1-line block ×4, first 2 shown]
	s_mov_b32 s12, s96
	s_mov_b32 s13, s68
	;; [unrolled: 1-line block ×4, first 2 shown]
	s_swappc_b64 s[30:31], s[16:17]
	v_cvt_f64_i32_e32 v[1:2], v42
	s_mov_b32 s16, 0x9999999c
	s_mov_b32 s17, 0x3fd99999
	;; [unrolled: 1-line block ×17, first 2 shown]
	v_add_nc_u32_e32 v42, -1, v42
	v_readlane_b32 s62, v124, 6
	v_readlane_b32 s56, v124, 4
	;; [unrolled: 1-line block ×3, first 2 shown]
	v_cndmask_b32_e64 v4, v2, 0x3ff00000, s100
	v_cndmask_b32_e64 v3, v1, 0, s100
	v_readlane_b32 s90, v124, 0
	v_readlane_b32 s63, v124, 7
	;; [unrolled: 1-line block ×4, first 2 shown]
	v_cmp_neq_f64_e32 vcc_lo, 0, v[3:4]
	v_readlane_b32 s91, v124, 1
	s_add_i32 s99, s99, 1
	v_cndmask_b32_e32 v2, 0x3ff00000, v95, vcc_lo
	v_cndmask_b32_e32 v1, 0, v94, vcc_lo
	v_frexp_mant_f64_e64 v[5:6], |v[1:2]|
	v_cmp_gt_f64_e32 vcc_lo, s[36:37], v[5:6]
	v_cndmask_b32_e64 v7, 0, 1, vcc_lo
	v_ldexp_f64 v[5:6], v[5:6], v7
	v_add_f64 v[7:8], v[5:6], 1.0
	v_add_f64 v[9:10], v[5:6], -1.0
	v_rcp_f64_e32 v[11:12], v[7:8]
	v_add_f64 v[13:14], v[7:8], -1.0
	v_add_f64 v[5:6], v[5:6], -v[13:14]
	v_fma_f64 v[13:14], -v[7:8], v[11:12], 1.0
	v_fma_f64 v[11:12], v[13:14], v[11:12], v[11:12]
	v_fma_f64 v[13:14], -v[7:8], v[11:12], 1.0
	v_fma_f64 v[11:12], v[13:14], v[11:12], v[11:12]
	v_mul_f64 v[13:14], v[9:10], v[11:12]
	v_mul_f64 v[15:16], v[7:8], v[13:14]
	v_fma_f64 v[7:8], v[13:14], v[7:8], -v[15:16]
	v_fma_f64 v[5:6], v[13:14], v[5:6], v[7:8]
	v_add_f64 v[7:8], v[15:16], v[5:6]
	v_add_f64 v[17:18], v[9:10], -v[7:8]
	v_add_f64 v[15:16], v[7:8], -v[15:16]
	;; [unrolled: 1-line block ×5, first 2 shown]
	v_add_f64 v[5:6], v[5:6], v[7:8]
	v_add_f64 v[5:6], v[17:18], v[5:6]
	v_mul_f64 v[5:6], v[11:12], v[5:6]
	v_add_f64 v[7:8], v[13:14], v[5:6]
	v_add_f64 v[9:10], v[7:8], -v[13:14]
	v_mul_f64 v[11:12], v[7:8], v[7:8]
	v_add_f64 v[5:6], v[5:6], -v[9:10]
	v_fma_f64 v[9:10], v[7:8], v[7:8], -v[11:12]
	v_add_f64 v[13:14], v[5:6], v[5:6]
	v_fma_f64 v[9:10], v[7:8], v[13:14], v[9:10]
	v_add_f64 v[13:14], v[11:12], v[9:10]
	v_fma_f64 v[15:16], v[13:14], s[70:71], s[66:67]
	v_add_f64 v[11:12], v[13:14], -v[11:12]
	v_mul_f64 v[17:18], v[7:8], v[13:14]
	v_fma_f64 v[15:16], v[13:14], v[15:16], s[82:83]
	v_add_f64 v[9:10], v[9:10], -v[11:12]
	v_fma_f64 v[11:12], v[13:14], v[7:8], -v[17:18]
	v_fma_f64 v[15:16], v[13:14], v[15:16], s[86:87]
	v_fma_f64 v[11:12], v[13:14], v[5:6], v[11:12]
	v_ldexp_f64 v[5:6], v[5:6], 1
	v_fma_f64 v[15:16], v[13:14], v[15:16], s[50:51]
	v_fma_f64 v[11:12], v[9:10], v[7:8], v[11:12]
	v_ldexp_f64 v[7:8], v[7:8], 1
	v_fma_f64 v[15:16], v[13:14], v[15:16], s[52:53]
	v_fma_f64 v[15:16], v[13:14], v[15:16], s[34:35]
	;; [unrolled: 1-line block ×4, first 2 shown]
	v_mul_f64 v[19:20], v[13:14], v[15:16]
	v_fma_f64 v[13:14], v[13:14], v[15:16], -v[19:20]
	v_fma_f64 v[9:10], v[9:10], v[15:16], v[13:14]
	v_add_f64 v[13:14], v[19:20], v[9:10]
	v_add_f64 v[15:16], v[13:14], -v[19:20]
	v_add_f64 v[19:20], v[13:14], s[36:37]
	v_add_f64 v[9:10], v[9:10], -v[15:16]
	v_add_f64 v[15:16], v[19:20], s[48:49]
	v_add_f64 v[9:10], v[9:10], s[14:15]
	v_add_f64 v[13:14], v[13:14], -v[15:16]
	v_add_f64 v[15:16], v[17:18], v[11:12]
	;; [unrolled: 3-line block ×3, first 2 shown]
	v_add_f64 v[11:12], v[11:12], -v[13:14]
	v_add_f64 v[13:14], v[19:20], -v[17:18]
	v_mul_f64 v[19:20], v[15:16], v[17:18]
	v_add_f64 v[9:10], v[9:10], v[13:14]
	v_fma_f64 v[13:14], v[15:16], v[17:18], -v[19:20]
	v_fma_f64 v[9:10], v[15:16], v[9:10], v[13:14]
	v_frexp_exp_i32_f64_e32 v13, v[1:2]
	v_fma_f64 v[9:10], v[11:12], v[17:18], v[9:10]
	v_subrev_co_ci_u32_e64 v13, null, 0, v13, vcc_lo
	v_cvt_f64_i32_e32 v[13:14], v13
	v_add_f64 v[11:12], v[19:20], v[9:10]
	v_add_f64 v[15:16], v[7:8], v[11:12]
	v_add_f64 v[17:18], v[11:12], -v[19:20]
	v_mul_f64 v[19:20], v[13:14], s[80:81]
	v_add_f64 v[7:8], v[15:16], -v[7:8]
	v_add_f64 v[9:10], v[9:10], -v[17:18]
	v_fma_f64 v[17:18], v[13:14], s[80:81], -v[19:20]
	v_add_f64 v[7:8], v[11:12], -v[7:8]
	v_add_f64 v[5:6], v[5:6], v[9:10]
	v_fma_f64 v[9:10], v[13:14], s[54:55], v[17:18]
	v_add_f64 v[5:6], v[5:6], v[7:8]
	v_add_f64 v[7:8], v[19:20], v[9:10]
	;; [unrolled: 1-line block ×3, first 2 shown]
	v_add_f64 v[19:20], v[7:8], -v[19:20]
	v_add_f64 v[13:14], v[7:8], v[11:12]
	v_add_f64 v[9:10], v[9:10], -v[19:20]
	v_add_f64 v[15:16], v[11:12], -v[15:16]
	;; [unrolled: 1-line block ×6, first 2 shown]
	v_add_f64 v[15:16], v[9:10], v[5:6]
	v_add_f64 v[7:8], v[7:8], -v[19:20]
	s_clause 0x1
	buffer_load_dword v19, v59, s[0:3], 0 offen
	buffer_load_dword v20, v59, s[0:3], 0 offen offset:4
	v_add_nc_u32_e32 v59, 56, v59
	v_add_f64 v[7:8], v[11:12], v[7:8]
	v_add_f64 v[11:12], v[15:16], -v[9:10]
	v_add_f64 v[7:8], v[15:16], v[7:8]
	v_add_f64 v[15:16], v[15:16], -v[11:12]
	v_add_f64 v[5:6], v[5:6], -v[11:12]
	v_add_f64 v[17:18], v[13:14], v[7:8]
	v_add_f64 v[9:10], v[9:10], -v[15:16]
	;; [unrolled: 3-line block ×3, first 2 shown]
	v_add_f64 v[5:6], v[5:6], v[7:8]
	v_add_f64 v[9:10], v[17:18], v[5:6]
	v_add_f64 v[11:12], v[9:10], -v[17:18]
	v_mul_f64 v[7:8], v[3:4], v[9:10]
	v_add_f64 v[5:6], v[5:6], -v[11:12]
	v_fma_f64 v[9:10], v[3:4], v[9:10], -v[7:8]
	v_cmp_class_f64_e64 vcc_lo, v[7:8], 0x204
	v_fma_f64 v[5:6], v[3:4], v[5:6], v[9:10]
	v_add_f64 v[11:12], v[7:8], v[5:6]
	v_cndmask_b32_e32 v10, v12, v8, vcc_lo
	v_cndmask_b32_e32 v9, v11, v7, vcc_lo
	v_add_f64 v[7:8], v[11:12], -v[7:8]
	v_mul_f64 v[13:14], v[9:10], s[4:5]
	s_mov_b32 s4, 0x14761f6e
	s_mov_b32 s5, 0x3f2a01a0
	v_cmp_neq_f64_e64 vcc_lo, 0x7ff00000, |v[9:10]|
	v_add_f64 v[5:6], v[5:6], -v[7:8]
	v_rndne_f64_e32 v[13:14], v[13:14]
	v_cndmask_b32_e32 v6, 0, v6, vcc_lo
	v_cndmask_b32_e32 v5, 0, v5, vcc_lo
	v_fma_f64 v[15:16], v[13:14], s[68:69], v[9:10]
	v_cvt_i32_f64_e32 v21, v[13:14]
	s_mov_b32 s68, s103
	v_fma_f64 v[15:16], v[13:14], s[84:85], v[15:16]
	s_mov_b32 s84, s64
	v_fma_f64 v[17:18], v[15:16], s[8:9], s[6:7]
	s_mov_b32 s6, 0x1852b7b0
	s_mov_b32 s7, 0x3f56c16c
	;; [unrolled: 1-line block ×4, first 2 shown]
	v_fma_f64 v[17:18], v[15:16], v[17:18], s[10:11]
	s_mov_b32 s10, 0x555502a1
	s_mov_b32 s11, 0x3fa55555
	v_fma_f64 v[17:18], v[15:16], v[17:18], s[12:13]
	s_mov_b32 s12, 0x55555511
	s_mov_b32 s13, 0x3fc55555
	;; [unrolled: 3-line block ×3, first 2 shown]
	v_fma_f64 v[17:18], v[15:16], v[17:18], s[6:7]
	v_fma_f64 v[17:18], v[15:16], v[17:18], s[8:9]
	;; [unrolled: 1-line block ×5, first 2 shown]
	v_cmp_nlt_f64_e64 s4, 0x40900000, v[9:10]
	v_cmp_ngt_f64_e64 s5, 0xc090cc00, v[9:10]
	v_fma_f64 v[17:18], v[15:16], v[17:18], 1.0
	s_and_b32 vcc_lo, s5, s4
	v_fma_f64 v[13:14], v[15:16], v[17:18], 1.0
	v_trunc_f64_e32 v[15:16], v[3:4]
	v_ldexp_f64 v[11:12], v[13:14], v21
	v_mul_f64 v[13:14], v[3:4], 0.5
	v_cmp_eq_f64_e64 s6, v[15:16], v[3:4]
	v_cndmask_b32_e64 v12, 0x7ff00000, v12, s4
	v_trunc_f64_e32 v[7:8], v[13:14]
	v_cmp_gt_f64_e64 s4, 0, v[3:4]
	v_cmp_neq_f64_e64 s7, v[7:8], v[13:14]
	v_cndmask_b32_e64 v8, 0, v12, s5
	v_cndmask_b32_e32 v7, 0, v11, vcc_lo
	v_cmp_eq_f64_e64 s5, 0, v[1:2]
	v_fma_f64 v[5:6], v[7:8], v[5:6], v[7:8]
	v_cmp_class_f64_e64 vcc_lo, v[7:8], 0x204
	s_and_b32 s7, s6, s7
	v_cndmask_b32_e64 v3, 0x3ff00000, v2, s7
	s_xor_b32 s4, s4, s5
	v_cndmask_b32_e32 v4, v5, v7, vcc_lo
	v_cndmask_b32_e32 v5, v6, v8, vcc_lo
	v_cmp_gt_f64_e32 vcc_lo, 0, v[1:2]
	v_cndmask_b32_e64 v7, 0x7ff00000, 0, s4
	v_cndmask_b32_e64 v8, 0, v2, s7
	;; [unrolled: 1-line block ×3, first 2 shown]
	v_bfi_b32 v3, 0x7fffffff, v5, v3
	v_bfi_b32 v7, 0x7fffffff, v7, v8
	v_cndmask_b32_e64 v5, 0x7ff80000, v3, s6
	v_cmp_class_f64_e64 s6, v[1:2], 0x204
	v_cndmask_b32_e32 v4, v4, v6, vcc_lo
	v_cndmask_b32_e32 v3, v3, v5, vcc_lo
	s_or_b32 vcc_lo, s5, s6
	v_cndmask_b32_e32 v3, v3, v7, vcc_lo
	v_cndmask_b32_e64 v4, v4, 0, vcc_lo
	v_cmp_o_f64_e32 vcc_lo, v[1:2], v[1:2]
	v_cvt_f64_i32_e32 v[0:1], v0
	v_cndmask_b32_e32 v2, 0, v4, vcc_lo
	v_cndmask_b32_e32 v3, 0x7ff80000, v3, vcc_lo
	v_cmp_eq_u32_e32 vcc_lo, -1, v42
	v_mul_f64 v[0:1], v[2:3], v[0:1]
	s_or_b32 s101, vcc_lo, s101
	s_waitcnt vmcnt(0)
	v_fma_f64 v[104:105], v[19:20], v[0:1], v[104:105]
	s_andn2_b32 exec_lo, exec_lo, s101
	s_cbranch_execnz .LBB0_294
; %bb.295:                              ;   in Loop: Header=BB0_292 Depth=2
	s_or_b32 exec_lo, exec_lo, s101
	s_mov_b32 s66, 0x4222de17
	s_mov_b32 s70, 0x3abe935a
	s_mov_b32 s82, 0x47e6c9c2
	s_mov_b32 s86, 0xcfa74449
	s_mov_b32 s50, 0x71bf3c30
	s_mov_b32 s52, 0x1c7792ce
	s_mov_b32 s34, 0x924920da
	s_mov_b32 s38, 0x9999999c
	s_mov_b32 s99, s102
	s_mov_b32 s67, 0x3fbdee67
	s_mov_b32 s71, 0x3fbe25e4
	s_mov_b32 s83, 0x3fc110ef
	s_mov_b32 s87, 0x3fc3b13b
	s_mov_b32 s51, 0x3fc745d1
	s_mov_b32 s53, 0x3fcc71c7
	s_mov_b32 s35, 0x3fd24924
	s_mov_b32 s39, 0x3fd99999
	s_branch .LBB0_291
.LBB0_296:
	s_or_b32 exec_lo, exec_lo, s6
	s_clause 0x3
	buffer_load_dword v90, off, s[0:3], s33 offset:912
	buffer_load_dword v91, off, s[0:3], s33 offset:916
	;; [unrolled: 1-line block ×4, first 2 shown]
	v_readlane_b32 s5, v124, 8
.LBB0_297:
	s_or_b32 exec_lo, exec_lo, s5
	s_clause 0x1
	buffer_load_dword v1, off, s[0:3], s33 offset:904
	buffer_load_dword v2, off, s[0:3], s33 offset:908
	s_mov_b32 s4, 0x50429b6d
	s_mov_b32 s5, 0x3ff20dd7
	v_readlane_b32 s30, v126, 7
	v_readlane_b32 s31, v126, 8
	;; [unrolled: 1-line block ×41, first 2 shown]
	s_mov_b32 s32, s33
	s_waitcnt vmcnt(0)
	v_cmp_gt_f64_e32 vcc_lo, 0x10000000, v[1:2]
	v_cndmask_b32_e64 v0, 0, 0x100, vcc_lo
	v_ldexp_f64 v[0:1], v[1:2], v0
	v_rsq_f64_e32 v[2:3], v[0:1]
	v_mul_f64 v[4:5], v[0:1], v[2:3]
	v_mul_f64 v[2:3], v[2:3], 0.5
	v_fma_f64 v[6:7], -v[2:3], v[4:5], 0.5
	v_fma_f64 v[4:5], v[4:5], v[6:7], v[4:5]
	v_fma_f64 v[2:3], v[2:3], v[6:7], v[2:3]
	v_fma_f64 v[6:7], -v[4:5], v[4:5], v[0:1]
	v_fma_f64 v[4:5], v[6:7], v[2:3], v[4:5]
	v_fma_f64 v[6:7], -v[4:5], v[4:5], v[0:1]
	v_fma_f64 v[2:3], v[6:7], v[2:3], v[4:5]
	v_cndmask_b32_e64 v4, 0, 0xffffff80, vcc_lo
	v_cmp_class_f64_e64 vcc_lo, v[0:1], 0x260
	v_ldexp_f64 v[2:3], v[2:3], v4
	v_cndmask_b32_e32 v1, v3, v1, vcc_lo
	v_cndmask_b32_e32 v0, v2, v0, vcc_lo
	s_clause 0x3
	buffer_load_dword v2, off, s[0:3], s33 offset:856
	buffer_load_dword v3, off, s[0:3], s33 offset:860
	;; [unrolled: 1-line block ×4, first 2 shown]
	v_mul_f64 v[0:1], v[0:1], s[4:5]
	v_readlane_b32 s4, v126, 9
	s_waitcnt vmcnt(0)
	v_mul_f64 v[0:1], v[4:5], v[0:1]
	s_clause 0x3
	buffer_load_dword v2, off, s[0:3], s33 offset:888
	buffer_load_dword v3, off, s[0:3], s33 offset:892
	;; [unrolled: 1-line block ×4, first 2 shown]
	v_mul_f64 v[0:1], v[92:93], v[0:1]
	s_waitcnt vmcnt(0)
	v_mul_f64 v[0:1], v[4:5], v[0:1]
	s_clause 0x3
	buffer_load_dword v2, off, s[0:3], s33 offset:872
	buffer_load_dword v3, off, s[0:3], s33 offset:876
	;; [unrolled: 1-line block ×4, first 2 shown]
	s_waitcnt vmcnt(0)
	v_mul_f64 v[0:1], v[4:5], v[0:1]
	v_mul_f64 v[0:1], v[0:1], v[110:111]
	s_clause 0x2b
	buffer_load_dword v123, off, s[0:3], s33
	buffer_load_dword v122, off, s[0:3], s33 offset:4
	buffer_load_dword v121, off, s[0:3], s33 offset:8
	buffer_load_dword v120, off, s[0:3], s33 offset:12
	buffer_load_dword v111, off, s[0:3], s33 offset:16
	buffer_load_dword v110, off, s[0:3], s33 offset:20
	buffer_load_dword v109, off, s[0:3], s33 offset:24
	buffer_load_dword v108, off, s[0:3], s33 offset:28
	buffer_load_dword v107, off, s[0:3], s33 offset:32
	buffer_load_dword v106, off, s[0:3], s33 offset:36
	buffer_load_dword v105, off, s[0:3], s33 offset:40
	buffer_load_dword v104, off, s[0:3], s33 offset:44
	buffer_load_dword v95, off, s[0:3], s33 offset:48
	buffer_load_dword v94, off, s[0:3], s33 offset:52
	buffer_load_dword v93, off, s[0:3], s33 offset:56
	buffer_load_dword v92, off, s[0:3], s33 offset:60
	buffer_load_dword v91, off, s[0:3], s33 offset:64
	buffer_load_dword v90, off, s[0:3], s33 offset:68
	buffer_load_dword v89, off, s[0:3], s33 offset:72
	buffer_load_dword v88, off, s[0:3], s33 offset:76
	buffer_load_dword v79, off, s[0:3], s33 offset:80
	buffer_load_dword v78, off, s[0:3], s33 offset:84
	buffer_load_dword v77, off, s[0:3], s33 offset:88
	buffer_load_dword v76, off, s[0:3], s33 offset:92
	buffer_load_dword v75, off, s[0:3], s33 offset:96
	buffer_load_dword v74, off, s[0:3], s33 offset:100
	buffer_load_dword v73, off, s[0:3], s33 offset:104
	buffer_load_dword v72, off, s[0:3], s33 offset:108
	buffer_load_dword v63, off, s[0:3], s33 offset:112
	buffer_load_dword v62, off, s[0:3], s33 offset:116
	buffer_load_dword v61, off, s[0:3], s33 offset:120
	buffer_load_dword v60, off, s[0:3], s33 offset:124
	buffer_load_dword v59, off, s[0:3], s33 offset:128
	buffer_load_dword v58, off, s[0:3], s33 offset:132
	buffer_load_dword v57, off, s[0:3], s33 offset:136
	buffer_load_dword v56, off, s[0:3], s33 offset:140
	buffer_load_dword v47, off, s[0:3], s33 offset:144
	buffer_load_dword v46, off, s[0:3], s33 offset:148
	buffer_load_dword v45, off, s[0:3], s33 offset:152
	buffer_load_dword v44, off, s[0:3], s33 offset:156
	buffer_load_dword v43, off, s[0:3], s33 offset:160
	buffer_load_dword v42, off, s[0:3], s33 offset:164
	buffer_load_dword v41, off, s[0:3], s33 offset:168
	buffer_load_dword v40, off, s[0:3], s33 offset:172
	s_or_saveexec_b32 s5, -1
	s_clause 0x3
	buffer_load_dword v127, off, s[0:3], s33 offset:928
	buffer_load_dword v126, off, s[0:3], s33 offset:932
	;; [unrolled: 1-line block ×4, first 2 shown]
	s_mov_b32 exec_lo, s5
	s_mov_b32 s33, s4
	s_waitcnt vmcnt(0)
	s_setpc_b64 s[30:31]
.LBB0_298:
	s_or_b32 exec_lo, exec_lo, s6
                                        ; implicit-def: $vgpr14_vgpr15
	s_andn2_saveexec_b32 s12, s17
	s_cbranch_execnz .LBB0_175
.LBB0_299:
	s_or_b32 exec_lo, exec_lo, s12
                                        ; implicit-def: $vgpr14_vgpr15
	s_andn2_saveexec_b32 s6, s16
	s_cbranch_execnz .LBB0_189
.LBB0_300:
	s_or_b32 exec_lo, exec_lo, s6
                                        ; implicit-def: $vgpr14_vgpr15
	s_andn2_saveexec_b32 s4, s15
	s_cbranch_execnz .LBB0_203
	s_branch .LBB0_216
.Lfunc_end0:
	.size	_Z15cuda_rys_pbf_dpPKdS0_S0_S0_, .Lfunc_end0-_Z15cuda_rys_pbf_dpPKdS0_S0_S0_
                                        ; -- End function
	.set .L_Z15cuda_rys_pbf_dpPKdS0_S0_S0_.num_vgpr, max(128, amdgpu.max_num_vgpr)
	.set .L_Z15cuda_rys_pbf_dpPKdS0_S0_S0_.num_agpr, max(0, amdgpu.max_num_agpr)
	.set .L_Z15cuda_rys_pbf_dpPKdS0_S0_S0_.numbered_sgpr, max(105, amdgpu.max_num_sgpr)
	.set .L_Z15cuda_rys_pbf_dpPKdS0_S0_S0_.num_named_barrier, max(0, amdgpu.max_num_named_barrier)
	.set .L_Z15cuda_rys_pbf_dpPKdS0_S0_S0_.private_seg_size, 960
	.set .L_Z15cuda_rys_pbf_dpPKdS0_S0_S0_.uses_vcc, 1
	.set .L_Z15cuda_rys_pbf_dpPKdS0_S0_S0_.uses_flat_scratch, 1
	.set .L_Z15cuda_rys_pbf_dpPKdS0_S0_S0_.has_dyn_sized_stack, 1
	.set .L_Z15cuda_rys_pbf_dpPKdS0_S0_S0_.has_recursion, 1
	.set .L_Z15cuda_rys_pbf_dpPKdS0_S0_S0_.has_indirect_call, 1
	.section	.AMDGPU.csdata,"",@progbits
; Function info:
; codeLenInByte = 99648
; TotalNumSgprs: .L_Z15cuda_rys_pbf_dpPKdS0_S0_S0_.numbered_sgpr+2
; NumVgprs: max(128, amdgpu.max_num_vgpr)
; ScratchSize: 960
; MemoryBound: 0
	.text
	.protected	_Z16cuda_mat_J_PI_dpPKdPKiiS0_PdS0_ ; -- Begin function _Z16cuda_mat_J_PI_dpPKdPKiiS0_PdS0_
	.globl	_Z16cuda_mat_J_PI_dpPKdPKiiS0_PdS0_
	.p2align	8
	.type	_Z16cuda_mat_J_PI_dpPKdPKiiS0_PdS0_,@function
_Z16cuda_mat_J_PI_dpPKdPKiiS0_PdS0_:    ; @_Z16cuda_mat_J_PI_dpPKdPKiiS0_PdS0_
; %bb.0:
	s_add_u32 s12, s12, s17
	s_movk_i32 s32, 0xa00
	s_addc_u32 s13, s13, 0
	s_setreg_b32 hwreg(HW_REG_FLAT_SCR_LO), s12
	s_setreg_b32 hwreg(HW_REG_FLAT_SCR_HI), s13
	s_mov_b64 s[54:55], s[6:7]
	s_load_dword s6, s[8:9], 0x10
	s_add_u32 s0, s0, s17
	s_addc_u32 s1, s1, 0
	s_mov_b64 s[64:65], s[4:5]
	s_waitcnt lgkmcnt(0)
	s_cmp_ge_i32 s14, s6
	s_cselect_b32 s4, -1, 0
	s_cmp_gt_i32 s15, s14
	s_cselect_b32 s5, -1, 0
	s_or_b32 s4, s5, s4
	s_and_b32 vcc_lo, exec_lo, s4
	s_cbranch_vccnz .LBB1_11
; %bb.1:
	s_clause 0x1
	s_load_dwordx2 s[66:67], s[8:9], 0x8
	s_load_dwordx2 s[4:5], s[8:9], 0x20
	v_mov_b32_e32 v40, v1
	v_mov_b32_e32 v41, v0
	v_lshlrev_b32_e32 v0, 20, v2
                                        ; implicit-def: $vgpr74 : SGPR spill to VGPR lane
	s_mov_b64 s[38:39], s[8:9]
	s_mov_b32 s48, s14
	v_lshlrev_b32_e32 v1, 10, v40
	s_add_u32 s34, s38, 48
	s_addc_u32 s35, s39, 0
	s_getpc_b64 s[36:37]
	s_add_u32 s36, s36, _Z16cuda_ij2intindexii@rel32@lo+4
	s_addc_u32 s37, s37, _Z16cuda_ij2intindexii@rel32@hi+12
	s_mov_b64 s[8:9], s[34:35]
	v_or3_b32 v42, v41, v1, v0
	v_mov_b32_e32 v0, s14
	v_mov_b32_e32 v1, s15
	s_mov_b32 s12, s14
	s_mov_b32 s13, s15
	v_mov_b32_e32 v31, v42
	s_mov_b32 s14, s16
	s_mov_b32 s33, s16
	;; [unrolled: 1-line block ×3, first 2 shown]
	s_waitcnt lgkmcnt(0)
	v_writelane_b32 v74, s4, 0
	s_mov_b64 s[52:53], s[10:11]
	v_writelane_b32 v74, s5, 1
	s_mov_b64 s[4:5], s[64:65]
	;; [unrolled: 2-line block ×3, first 2 shown]
	s_swappc_b64 s[30:31], s[36:37]
	s_ashr_i32 s49, s48, 31
	buffer_store_dword v0, off, s[0:3], 0 offset:56 ; 4-byte Folded Spill
	buffer_store_dword v1, off, s[0:3], 0 offset:60 ; 4-byte Folded Spill
	s_lshl_b64 s[4:5], s[48:49], 2
	v_mov_b32_e32 v31, v42
	s_add_u32 s4, s66, s4
	s_addc_u32 s5, s67, s5
	s_ashr_i32 s51, s50, 31
	s_mov_b64 s[8:9], s[34:35]
	s_lshl_b64 s[6:7], s[50:51], 2
	s_mov_b64 s[10:11], s[52:53]
	s_add_u32 s6, s66, s6
	v_writelane_b32 v74, s66, 3
	s_addc_u32 s7, s67, s7
	s_clause 0x1
	s_load_dword s12, s[4:5], 0x0
	s_load_dword s13, s[6:7], 0x0
	s_mov_b64 s[4:5], s[64:65]
	s_mov_b64 s[6:7], s[54:55]
	s_mov_b32 s14, s33
	v_writelane_b32 v74, s67, 4
	s_waitcnt lgkmcnt(0)
	v_mov_b32_e32 v0, s12
	v_mov_b32_e32 v1, s13
	s_mov_b32 s12, s48
	s_mov_b32 s13, s50
	s_swappc_b64 s[30:31], s[36:37]
	s_load_dword s4, s[38:39], 0x10
	v_lshlrev_b32_e32 v46, 3, v40
	v_mov_b32_e32 v58, 0
	s_mov_b32 s8, 0
	v_lshl_add_u32 v47, v41, 6, v46
	v_mov_b32_e32 v57, v58
	ds_write_b64 v47, v[57:58]
	s_waitcnt lgkmcnt(0)
	v_cmp_gt_i32_e32 vcc_lo, s4, v41
	s_mov_b32 s4, exec_lo
	v_writelane_b32 v74, s4, 5
	s_and_b32 s4, s4, vcc_lo
	s_mov_b32 exec_lo, s4
	s_cbranch_execz .LBB1_9
; %bb.2:
	s_clause 0x2
	s_load_dwordx2 s[10:11], s[38:39], 0x0
	s_load_dwordx2 s[34:35], s[38:39], 0x28
	;; [unrolled: 1-line block ×3, first 2 shown]
	s_lshl_b32 s4, s48, 3
	s_load_dwordx2 s[6:7], s[38:39], 0x8
	s_ashr_i32 s5, s4, 31
	v_ashrrev_i32_e32 v1, 31, v0
	s_lshl_b64 s[4:5], s[4:5], 3
	v_lshlrev_b32_e32 v2, 2, v40
	v_mov_b32_e32 v59, v41
	s_mov_b32 s66, 0x97d889bc
	v_lshlrev_b64 v[0:1], 3, v[0:1]
	s_mov_b32 s67, 0x3c9cd2b2
	s_waitcnt lgkmcnt(0)
	s_add_u32 s4, s10, s4
	v_add_co_u32 v61, vcc_lo, s34, v0
	v_writelane_b32 v74, s4, 6
	s_addc_u32 s4, s11, s5
	v_add_co_ci_u32_e64 v62, null, s35, v1, vcc_lo
	v_add_co_u32 v2, s6, s6, v2
	v_writelane_b32 v74, s4, 7
	s_lshl_b32 s4, s50, 3
	v_add_co_ci_u32_e64 v3, null, s7, 0, s6
	s_ashr_i32 s5, s4, 31
	buffer_store_dword v2, off, s[0:3], 0 offset:48 ; 4-byte Folded Spill
	buffer_store_dword v3, off, s[0:3], 0 offset:52 ; 4-byte Folded Spill
	s_lshl_b64 s[4:5], s[4:5], 3
	buffer_store_dword v61, off, s[0:3], 0 offset:40 ; 4-byte Folded Spill
	buffer_store_dword v62, off, s[0:3], 0 offset:44 ; 4-byte Folded Spill
	s_add_u32 s4, s10, s4
	v_writelane_b32 v74, s4, 8
	v_writelane_b32 v74, s10, 9
	s_addc_u32 s4, s11, s5
	v_writelane_b32 v74, s11, 10
	v_writelane_b32 v74, s4, 11
	;; [unrolled: 1-line block ×19, first 2 shown]
	s_branch .LBB1_4
.LBB1_3:                                ;   in Loop: Header=BB1_4 Depth=1
	v_readlane_b32 s4, v74, 30
	s_or_b32 exec_lo, exec_lo, s4
	v_add_nc_u32_e32 v59, 8, v59
	v_readlane_b32 s4, v74, 2
	v_readlane_b32 s8, v74, 29
	v_cmp_le_i32_e32 vcc_lo, s4, v59
	s_or_b32 s8, vcc_lo, s8
	s_andn2_b32 exec_lo, exec_lo, s8
	s_cbranch_execz .LBB1_9
.LBB1_4:                                ; =>This Loop Header: Depth=1
                                        ;     Child Loop BB1_7 Depth 2
	v_writelane_b32 v74, s8, 29
	v_cmp_le_u32_e32 vcc_lo, v40, v59
	s_mov_b32 s4, exec_lo
	v_writelane_b32 v74, s4, 30
	s_and_b32 s4, s4, vcc_lo
	s_mov_b32 exec_lo, s4
	s_cbranch_execz .LBB1_3
; %bb.5:                                ;   in Loop: Header=BB1_4 Depth=1
	v_mov_b32_e32 v60, v58
	v_readlane_b32 s4, v74, 3
	v_readlane_b32 s5, v74, 4
	v_lshlrev_b32_e32 v57, 3, v59
	v_mov_b32_e32 v56, v40
	v_lshlrev_b64 v[0:1], 2, v[59:60]
	s_mov_b32 s49, 0
	v_add_co_u32 v0, vcc_lo, s4, v0
	v_add_co_ci_u32_e64 v1, null, s5, v1, vcc_lo
	v_readlane_b32 s4, v74, 9
	v_readlane_b32 s5, v74, 10
	global_load_dword v43, v[0:1], off
	s_clause 0x1
	buffer_load_dword v72, off, s[0:3], 0 offset:48
	buffer_load_dword v73, off, s[0:3], 0 offset:52
	v_lshlrev_b64 v[0:1], 3, v[57:58]
	v_mov_b32_e32 v57, v46
	buffer_store_dword v59, off, s[0:3], 0 offset:32 ; 4-byte Folded Spill
	buffer_store_dword v60, off, s[0:3], 0 offset:36 ; 4-byte Folded Spill
	v_add_co_u32 v44, vcc_lo, s4, v0
	v_add_co_ci_u32_e64 v45, null, s5, v1, vcc_lo
	s_branch .LBB1_7
.LBB1_6:                                ;   in Loop: Header=BB1_7 Depth=2
	s_or_b32 exec_lo, exec_lo, s5
	v_add_nc_u32_e32 v56, 8, v56
	v_add_co_u32 v72, s4, v72, 32
	v_add_co_ci_u32_e64 v73, null, 0, v73, s4
	v_cmp_gt_u32_e32 vcc_lo, v56, v59
	v_add_nc_u32_e32 v57, 64, v57
	s_or_b32 s49, vcc_lo, s49
	s_andn2_b32 exec_lo, exec_lo, s49
	s_cbranch_execz .LBB1_3
.LBB1_7:                                ;   Parent Loop BB1_4 Depth=1
                                        ; =>  This Inner Loop Header: Depth=2
	s_waitcnt vmcnt(0)
	global_load_dword v1, v[72:73], off
	v_mov_b32_e32 v31, v42
	v_mov_b32_e32 v0, v43
	s_add_u32 s8, s38, 48
	s_addc_u32 s9, s39, 0
	s_getpc_b64 s[16:17]
	s_add_u32 s16, s16, _Z16cuda_ij2intindexii@rel32@lo+4
	s_addc_u32 s17, s17, _Z16cuda_ij2intindexii@rel32@hi+12
	s_mov_b64 s[4:5], s[64:65]
	s_mov_b64 s[6:7], s[54:55]
	;; [unrolled: 1-line block ×3, first 2 shown]
	s_mov_b32 s12, s48
	s_mov_b32 s13, s50
	;; [unrolled: 1-line block ×3, first 2 shown]
	s_swappc_b64 s[30:31], s[16:17]
	v_ashrrev_i32_e32 v1, 31, v0
	s_mov_b32 s5, exec_lo
	v_lshlrev_b64 v[0:1], 3, v[0:1]
	v_add_co_u32 v2, vcc_lo, s34, v0
	v_add_co_ci_u32_e64 v3, null, s35, v1, vcc_lo
	v_add_co_u32 v0, vcc_lo, s36, v0
	s_clause 0x1
	global_load_dwordx2 v[4:5], v[61:62], off
	global_load_dwordx2 v[2:3], v[2:3], off
	v_add_co_ci_u32_e64 v1, null, s37, v1, vcc_lo
	global_load_dwordx2 v[6:7], v[0:1], off
	s_waitcnt vmcnt(1)
	v_mul_f64 v[0:1], v[4:5], v[2:3]
	s_waitcnt vmcnt(0)
	v_mul_f64 v[0:1], v[0:1], v[6:7]
	v_cmpx_nlt_f64_e64 |v[0:1]|, s[66:67]
	s_cbranch_execz .LBB1_6
; %bb.8:                                ;   in Loop: Header=BB1_7 Depth=2
	s_add_u32 s8, s38, 48
	v_lshlrev_b64 v[0:1], 3, v[57:58]
	s_addc_u32 s9, s39, 0
	v_writelane_b32 v74, s5, 31
	s_or_saveexec_b32 s105, -1
	buffer_store_dword v74, off, s[0:3], 0  ; 4-byte Folded Spill
	s_mov_b32 exec_lo, s105
	v_readlane_b32 s4, v74, 9
	v_readlane_b32 s12, v74, 6
	buffer_store_dword v6, off, s[0:3], 0 offset:24 ; 4-byte Folded Spill
	buffer_store_dword v7, off, s[0:3], 0 offset:28 ; 4-byte Folded Spill
	v_readlane_b32 s5, v74, 10
	s_getpc_b64 s[16:17]
	s_add_u32 s16, s16, _Z15cuda_rys_pbf_dpPKdS0_S0_S0_@rel32@lo+4
	s_addc_u32 s17, s17, _Z15cuda_rys_pbf_dpPKdS0_S0_S0_@rel32@hi+12
	v_add_co_u32 v6, vcc_lo, s4, v0
	v_mov_b32_e32 v0, s12
	v_readlane_b32 s12, v74, 7
	v_add_co_ci_u32_e64 v7, null, s5, v1, vcc_lo
	s_mov_b64 s[4:5], s[64:65]
	s_mov_b64 s[6:7], s[54:55]
	v_mov_b32_e32 v1, s12
	v_readlane_b32 s12, v74, 8
	s_mov_b64 s[10:11], s[52:53]
	v_mov_b32_e32 v31, v42
	v_mov_b32_e32 v4, v44
	;; [unrolled: 1-line block ×4, first 2 shown]
	v_readlane_b32 s12, v74, 11
                                        ; implicit-def: $vgpr74 : SGPR spill to VGPR lane
	s_mov_b32 s13, s50
	s_mov_b32 s14, s33
	v_writelane_b32 v74, s49, 0
	v_mov_b32_e32 v3, s12
	s_mov_b32 s12, s48
	s_or_saveexec_b32 s105, -1
	buffer_store_dword v74, off, s[0:3], 0 offset:4 ; 4-byte Folded Spill
	s_mov_b32 exec_lo, s105
	buffer_store_dword v57, off, s[0:3], 0 offset:8 ; 4-byte Folded Spill
	buffer_store_dword v58, off, s[0:3], 0 offset:12 ; 4-byte Folded Spill
	;; [unrolled: 1-line block ×4, first 2 shown]
	s_swappc_b64 s[30:31], s[16:17]
	s_clause 0x7
	buffer_load_dword v72, off, s[0:3], 0 offset:16
	buffer_load_dword v73, off, s[0:3], 0 offset:20
	;; [unrolled: 1-line block ×8, first 2 shown]
	s_or_saveexec_b32 s105, -1
	buffer_load_dword v74, off, s[0:3], 0   ; 4-byte Folded Reload
	s_mov_b32 exec_lo, s105
	s_waitcnt vmcnt(0)
	v_readlane_b32 s36, v74, 27
	v_readlane_b32 s34, v74, 25
	;; [unrolled: 1-line block ×14, first 2 shown]
	s_mov_b32 s66, 0x97d889bc
	s_mov_b32 s67, 0x3c9cd2b2
	v_readlane_b32 s51, v74, 18
	s_or_saveexec_b32 s105, -1
	buffer_load_dword v63, off, s[0:3], 0 offset:4 ; 4-byte Folded Reload
	s_mov_b32 exec_lo, s105
	s_clause 0x1
	buffer_load_dword v2, off, s[0:3], 0 offset:24
	buffer_load_dword v3, off, s[0:3], 0 offset:28
	v_cmp_eq_u32_e32 vcc_lo, v59, v56
	v_mov_b32_e32 v4, v58
	v_readlane_b32 s38, v74, 13
	s_waitcnt vmcnt(2)
	v_readlane_b32 s49, v63, 0
	v_readlane_b32 s39, v74, 14
	v_cndmask_b32_e64 v5, 2.0, 0x3ff00000, vcc_lo
	v_readlane_b32 s33, v74, 12
	s_waitcnt vmcnt(0)
	v_mul_f64 v[0:1], v[2:3], v[0:1]
	ds_read_b64 v[2:3], v47
	s_waitcnt lgkmcnt(0)
	v_fma_f64 v[0:1], v[4:5], v[0:1], v[2:3]
	ds_write_b64 v47, v[0:1]
	s_branch .LBB1_6
.LBB1_9:
	v_readlane_b32 s4, v74, 5
	s_or_b32 exec_lo, exec_lo, s4
	v_or_b32_e32 v0, v41, v40
	s_waitcnt lgkmcnt(0)
	s_waitcnt_vscnt null, 0x0
	s_barrier
	buffer_gl0_inv
	s_mov_b32 s4, exec_lo
	v_cmpx_eq_u32_e32 0, v0
	s_cbranch_execz .LBB1_11
; %bb.10:
	v_mov_b32_e32 v10, 0
	v_readlane_b32 s4, v74, 0
	v_readlane_b32 s5, v74, 1
	ds_read_b128 v[0:3], v10
	ds_read_b128 v[4:7], v10 offset:16
	s_waitcnt lgkmcnt(1)
	v_add_f64 v[0:1], v[0:1], 0
	v_add_f64 v[0:1], v[2:3], v[0:1]
	s_waitcnt lgkmcnt(0)
	v_add_f64 v[0:1], v[4:5], v[0:1]
	v_add_f64 v[8:9], v[6:7], v[0:1]
	ds_read_b128 v[0:3], v10 offset:32
	ds_read_b128 v[4:7], v10 offset:48
	s_waitcnt lgkmcnt(1)
	v_add_f64 v[0:1], v[0:1], v[8:9]
	v_add_f64 v[0:1], v[2:3], v[0:1]
	s_waitcnt lgkmcnt(0)
	v_add_f64 v[0:1], v[4:5], v[0:1]
	v_add_f64 v[8:9], v[6:7], v[0:1]
	ds_read_b128 v[0:3], v10 offset:64
	;; [unrolled: 8-line block ×15, first 2 shown]
	ds_read_b128 v[4:7], v10 offset:496
	s_waitcnt lgkmcnt(1)
	v_add_f64 v[0:1], v[0:1], v[8:9]
	v_add_f64 v[0:1], v[2:3], v[0:1]
	s_clause 0x1
	buffer_load_dword v2, off, s[0:3], 0 offset:56
	buffer_load_dword v3, off, s[0:3], 0 offset:60
	s_waitcnt lgkmcnt(0)
	v_add_f64 v[0:1], v[4:5], v[0:1]
	v_add_f64 v[0:1], v[6:7], v[0:1]
	s_waitcnt vmcnt(0)
	v_ashrrev_i32_e32 v3, 31, v2
	v_lshlrev_b64 v[2:3], 3, v[2:3]
	v_add_co_u32 v2, vcc_lo, s4, v2
	v_add_co_ci_u32_e64 v3, null, s5, v3, vcc_lo
	global_store_dwordx2 v[2:3], v[0:1], off
.LBB1_11:
	s_endpgm
	.section	.rodata,"a",@progbits
	.p2align	6, 0x0
	.amdhsa_kernel _Z16cuda_mat_J_PI_dpPKdPKiiS0_PdS0_
		.amdhsa_group_segment_fixed_size 512
		.amdhsa_private_segment_fixed_size 1040
		.amdhsa_kernarg_size 304
		.amdhsa_user_sgpr_count 14
		.amdhsa_user_sgpr_private_segment_buffer 1
		.amdhsa_user_sgpr_dispatch_ptr 1
		.amdhsa_user_sgpr_queue_ptr 1
		.amdhsa_user_sgpr_kernarg_segment_ptr 1
		.amdhsa_user_sgpr_dispatch_id 1
		.amdhsa_user_sgpr_flat_scratch_init 1
		.amdhsa_user_sgpr_private_segment_size 0
		.amdhsa_wavefront_size32 1
		.amdhsa_uses_dynamic_stack 1
		.amdhsa_system_sgpr_private_segment_wavefront_offset 1
		.amdhsa_system_sgpr_workgroup_id_x 1
		.amdhsa_system_sgpr_workgroup_id_y 1
		.amdhsa_system_sgpr_workgroup_id_z 1
		.amdhsa_system_sgpr_workgroup_info 0
		.amdhsa_system_vgpr_workitem_id 2
		.amdhsa_next_free_vgpr max(totalnumvgprs(_Z16cuda_mat_J_PI_dpPKdPKiiS0_PdS0_.num_agpr, _Z16cuda_mat_J_PI_dpPKdPKiiS0_PdS0_.num_vgpr), 1, 0)
		.amdhsa_next_free_sgpr max(_Z16cuda_mat_J_PI_dpPKdPKiiS0_PdS0_.numbered_sgpr+2, 1, 0)-2
		.amdhsa_reserve_vcc 1
		.amdhsa_reserve_flat_scratch 1
		.amdhsa_float_round_mode_32 0
		.amdhsa_float_round_mode_16_64 0
		.amdhsa_float_denorm_mode_32 3
		.amdhsa_float_denorm_mode_16_64 3
		.amdhsa_dx10_clamp 1
		.amdhsa_ieee_mode 1
		.amdhsa_fp16_overflow 0
		.amdhsa_workgroup_processor_mode 1
		.amdhsa_memory_ordered 1
		.amdhsa_forward_progress 1
		.amdhsa_shared_vgpr_count 0
		.amdhsa_exception_fp_ieee_invalid_op 0
		.amdhsa_exception_fp_denorm_src 0
		.amdhsa_exception_fp_ieee_div_zero 0
		.amdhsa_exception_fp_ieee_overflow 0
		.amdhsa_exception_fp_ieee_underflow 0
		.amdhsa_exception_fp_ieee_inexact 0
		.amdhsa_exception_int_div_zero 0
	.end_amdhsa_kernel
	.text
.Lfunc_end1:
	.size	_Z16cuda_mat_J_PI_dpPKdPKiiS0_PdS0_, .Lfunc_end1-_Z16cuda_mat_J_PI_dpPKdPKiiS0_PdS0_
                                        ; -- End function
	.set _Z16cuda_mat_J_PI_dpPKdPKiiS0_PdS0_.num_vgpr, max(75, amdgpu.max_num_vgpr)
	.set _Z16cuda_mat_J_PI_dpPKdPKiiS0_PdS0_.num_agpr, max(0, amdgpu.max_num_agpr)
	.set _Z16cuda_mat_J_PI_dpPKdPKiiS0_PdS0_.numbered_sgpr, max(106, amdgpu.max_num_sgpr)
	.set _Z16cuda_mat_J_PI_dpPKdPKiiS0_PdS0_.num_named_barrier, max(0, amdgpu.max_num_named_barrier)
	.set _Z16cuda_mat_J_PI_dpPKdPKiiS0_PdS0_.private_seg_size, 80+max(.L_Z15cuda_rys_pbf_dpPKdS0_S0_S0_.private_seg_size)
	.set _Z16cuda_mat_J_PI_dpPKdPKiiS0_PdS0_.uses_vcc, 1
	.set _Z16cuda_mat_J_PI_dpPKdPKiiS0_PdS0_.uses_flat_scratch, 1
	.set _Z16cuda_mat_J_PI_dpPKdPKiiS0_PdS0_.has_dyn_sized_stack, 1
	.set _Z16cuda_mat_J_PI_dpPKdPKiiS0_PdS0_.has_recursion, 1
	.set _Z16cuda_mat_J_PI_dpPKdPKiiS0_PdS0_.has_indirect_call, 1
	.section	.AMDGPU.csdata,"",@progbits
; Kernel info:
; codeLenInByte = 2912
; TotalNumSgprs: _Z16cuda_mat_J_PI_dpPKdPKiiS0_PdS0_.numbered_sgpr+2
; NumVgprs: _Z16cuda_mat_J_PI_dpPKdPKiiS0_PdS0_.num_vgpr
; ScratchSize: 1040
; MemoryBound: 0
; FloatMode: 240
; IeeeMode: 1
; LDSByteSize: 512 bytes/workgroup (compile time only)
; SGPRBlocks: 0
; VGPRBlocks: (alignto(max(max(totalnumvgprs(_Z16cuda_mat_J_PI_dpPKdPKiiS0_PdS0_.num_agpr, _Z16cuda_mat_J_PI_dpPKdPKiiS0_PdS0_.num_vgpr), 1, 0), 1), 8)/8)-1
; NumSGPRsForWavesPerEU: max(_Z16cuda_mat_J_PI_dpPKdPKiiS0_PdS0_.numbered_sgpr+2, 1, 0)
; NumVGPRsForWavesPerEU: max(totalnumvgprs(_Z16cuda_mat_J_PI_dpPKdPKiiS0_PdS0_.num_agpr, _Z16cuda_mat_J_PI_dpPKdPKiiS0_PdS0_.num_vgpr), 1, 0)
; Occupancy: occupancy(16, 16, 1024, 9, 16, max(_Z16cuda_mat_J_PI_dpPKdPKiiS0_PdS0_.numbered_sgpr+extrasgprs(_Z16cuda_mat_J_PI_dpPKdPKiiS0_PdS0_.uses_vcc, _Z16cuda_mat_J_PI_dpPKdPKiiS0_PdS0_.uses_flat_scratch, 0), 1, 0), max(totalnumvgprs(_Z16cuda_mat_J_PI_dpPKdPKiiS0_PdS0_.num_agpr, _Z16cuda_mat_J_PI_dpPKdPKiiS0_PdS0_.num_vgpr), 1, 0))
; WaveLimiterHint : 1
; COMPUTE_PGM_RSRC2:SCRATCH_EN: 1
; COMPUTE_PGM_RSRC2:USER_SGPR: 14
; COMPUTE_PGM_RSRC2:TRAP_HANDLER: 0
; COMPUTE_PGM_RSRC2:TGID_X_EN: 1
; COMPUTE_PGM_RSRC2:TGID_Y_EN: 1
; COMPUTE_PGM_RSRC2:TGID_Z_EN: 1
; COMPUTE_PGM_RSRC2:TIDIG_COMP_CNT: 2
	.text
	.protected	_Z16cuda_mat_K_PI_dpPKdPKiiS0_PdS0_ ; -- Begin function _Z16cuda_mat_K_PI_dpPKdPKiiS0_PdS0_
	.globl	_Z16cuda_mat_K_PI_dpPKdPKiiS0_PdS0_
	.p2align	8
	.type	_Z16cuda_mat_K_PI_dpPKdPKiiS0_PdS0_,@function
_Z16cuda_mat_K_PI_dpPKdPKiiS0_PdS0_:    ; @_Z16cuda_mat_K_PI_dpPKdPKiiS0_PdS0_
; %bb.0:
	s_add_u32 s12, s12, s17
	s_movk_i32 s32, 0xa00
	s_addc_u32 s13, s13, 0
	s_setreg_b32 hwreg(HW_REG_FLAT_SCR_LO), s12
	s_setreg_b32 hwreg(HW_REG_FLAT_SCR_HI), s13
	s_load_dword s66, s[8:9], 0x10
	s_add_u32 s0, s0, s17
	s_addc_u32 s1, s1, 0
	s_mov_b64 s[64:65], s[4:5]
	s_waitcnt lgkmcnt(0)
	s_cmp_ge_i32 s14, s66
	s_cselect_b32 s4, -1, 0
	s_cmp_gt_i32 s15, s14
	s_cselect_b32 s5, -1, 0
	s_or_b32 s4, s5, s4
	s_and_b32 vcc_lo, exec_lo, s4
	s_cbranch_vccnz .LBB2_11
; %bb.1:
	s_load_dwordx2 s[4:5], s[8:9], 0x20
	v_mov_b32_e32 v40, v1
	v_mov_b32_e32 v41, v0
	v_lshlrev_b32_e32 v0, 20, v2
                                        ; implicit-def: $vgpr74 : SGPR spill to VGPR lane
	s_mov_b64 s[38:39], s[8:9]
	s_mov_b32 s33, s16
	v_lshlrev_b32_e32 v1, 10, v40
	s_add_u32 s8, s38, 48
	s_addc_u32 s9, s39, 0
	s_mov_b32 s48, s14
	s_getpc_b64 s[16:17]
	s_add_u32 s16, s16, _Z16cuda_ij2intindexii@rel32@lo+4
	s_addc_u32 s17, s17, _Z16cuda_ij2intindexii@rel32@hi+12
	v_or3_b32 v42, v41, v1, v0
	v_mov_b32_e32 v0, s14
	v_mov_b32_e32 v1, s15
	s_mov_b32 s12, s14
	s_mov_b32 s13, s15
	v_mov_b32_e32 v31, v42
	s_mov_b32 s14, s33
	s_mov_b32 s50, s15
	s_mov_b64 s[52:53], s[10:11]
	s_waitcnt lgkmcnt(0)
	v_writelane_b32 v74, s4, 0
	s_mov_b64 s[54:55], s[6:7]
	v_writelane_b32 v74, s5, 1
	s_mov_b64 s[4:5], s[64:65]
	s_swappc_b64 s[30:31], s[16:17]
	v_lshlrev_b32_e32 v56, 3, v40
	v_mov_b32_e32 v60, 0
	s_mov_b32 s8, 0
	buffer_store_dword v0, off, s[0:3], 0 offset:56 ; 4-byte Folded Spill
	buffer_store_dword v1, off, s[0:3], 0 offset:60 ; 4-byte Folded Spill
	v_cmp_gt_i32_e32 vcc_lo, s66, v41
	v_lshl_add_u32 v57, v41, 6, v56
	v_mov_b32_e32 v59, v60
	ds_write_b64 v57, v[59:60]
	s_mov_b32 s4, exec_lo
	v_writelane_b32 v74, s4, 2
	s_or_saveexec_b32 s105, -1
	buffer_store_dword v74, off, s[0:3], 0  ; 4-byte Folded Spill
	s_mov_b32 exec_lo, s105
	s_and_b32 s4, s4, vcc_lo
	s_mov_b32 exec_lo, s4
	s_cbranch_execz .LBB2_9
; %bb.2:
	s_clause 0x1
	s_load_dwordx4 s[12:15], s[38:39], 0x0
	s_load_dwordx2 s[68:69], s[38:39], 0x18
	s_lshl_b32 s4, s48, 3
	s_mov_b32 s105, exec_lo
	s_ashr_i32 s5, s4, 31
	s_lshl_b64 s[4:5], s[4:5], 3
	s_waitcnt lgkmcnt(0)
	s_add_u32 s4, s12, s4
	s_mov_b32 exec_lo, -1
	buffer_load_dword v74, off, s[0:3], 0   ; 4-byte Folded Reload
	s_mov_b32 exec_lo, s105
	s_waitcnt vmcnt(0)
	v_writelane_b32 v74, s4, 3
	s_addc_u32 s4, s13, s5
	v_lshlrev_b32_e32 v0, 2, v40
	s_load_dwordx2 s[70:71], s[38:39], 0x28
	s_mov_b32 s80, 0x97d889bc
	v_writelane_b32 v74, s4, 4
	s_lshl_b32 s4, s50, 3
	s_mov_b32 s81, 0x3c9cd2b2
	s_ashr_i32 s5, s4, 31
	s_lshl_b64 s[4:5], s[4:5], 3
	s_add_u32 s4, s12, s4
	v_writelane_b32 v74, s4, 5
	s_addc_u32 s4, s13, s5
	s_ashr_i32 s49, s48, 31
	v_writelane_b32 v74, s4, 6
	s_lshl_b64 s[4:5], s[48:49], 2
	s_add_u32 s4, s14, s4
	s_addc_u32 s5, s15, s5
	s_ashr_i32 s51, s50, 31
	s_load_dword s4, s[4:5], 0x0
	s_lshl_b64 s[6:7], s[50:51], 2
	s_add_u32 s6, s14, s6
	s_addc_u32 s7, s15, s7
	s_load_dword s49, s[6:7], 0x0
	s_waitcnt lgkmcnt(0)
	v_writelane_b32 v74, s4, 7
	v_cmp_gt_u32_e64 s4, s66, v40
	v_writelane_b32 v74, s4, 8
	v_add_co_u32 v0, s4, s14, v0
	v_writelane_b32 v74, s12, 9
	v_add_co_ci_u32_e64 v1, null, s15, 0, s4
	buffer_store_dword v0, off, s[0:3], 0 offset:48 ; 4-byte Folded Spill
	buffer_store_dword v1, off, s[0:3], 0 offset:52 ; 4-byte Folded Spill
	v_writelane_b32 v74, s13, 10
	v_mov_b32_e32 v0, v41
	v_writelane_b32 v74, s14, 11
	v_writelane_b32 v74, s15, 12
	;; [unrolled: 1-line block ×21, first 2 shown]
	s_or_saveexec_b32 s105, -1
	buffer_store_dword v74, off, s[0:3], 0  ; 4-byte Folded Spill
	s_mov_b32 exec_lo, s105
	s_branch .LBB2_4
.LBB2_3:                                ;   in Loop: Header=BB2_4 Depth=1
	v_readlane_b32 s4, v63, 1
	s_or_b32 exec_lo, exec_lo, s4
	s_clause 0x1
	buffer_load_dword v0, off, s[0:3], 0 offset:40
	buffer_load_dword v1, off, s[0:3], 0 offset:44
	v_readlane_b32 s8, v63, 0
	s_waitcnt vmcnt(1)
	v_add_nc_u32_e32 v0, 8, v0
	v_cmp_le_i32_e32 vcc_lo, s66, v0
	s_or_b32 s8, vcc_lo, s8
	s_andn2_b32 exec_lo, exec_lo, s8
	s_cbranch_execz .LBB2_9
.LBB2_4:                                ; =>This Loop Header: Depth=1
                                        ;     Child Loop BB2_7 Depth 2
	s_waitcnt vmcnt(0)
	v_mov_b32_e32 v1, v60
	v_mov_b32_e32 v2, v0
                                        ; implicit-def: $vgpr63 : SGPR spill to VGPR lane
	buffer_store_dword v2, off, s[0:3], 0 offset:40 ; 4-byte Folded Spill
	buffer_store_dword v3, off, s[0:3], 0 offset:44 ; 4-byte Folded Spill
	v_lshlrev_b64 v[0:1], 2, v[0:1]
	v_writelane_b32 v63, s8, 0
	s_or_saveexec_b32 s105, -1
	buffer_load_dword v74, off, s[0:3], 0   ; 4-byte Folded Reload
	s_mov_b32 exec_lo, s105
	s_waitcnt vmcnt(0)
	v_readlane_b32 s4, v74, 9
	v_readlane_b32 s6, v74, 11
	;; [unrolled: 1-line block ×4, first 2 shown]
	v_mov_b32_e32 v31, v42
	s_add_u32 s8, s38, 48
	v_add_co_u32 v0, vcc_lo, s6, v0
	v_add_co_ci_u32_e64 v1, null, s7, v1, vcc_lo
	v_readlane_b32 s5, v74, 10
	s_addc_u32 s9, s39, 0
	s_getpc_b64 s[16:17]
	s_add_u32 s16, s16, _Z16cuda_ij2intindexii@rel32@lo+4
	s_addc_u32 s17, s17, _Z16cuda_ij2intindexii@rel32@hi+12
	global_load_dword v43, v[0:1], off
	v_mov_b32_e32 v0, s12
	s_mov_b64 s[4:5], s[64:65]
	s_mov_b64 s[6:7], s[54:55]
	;; [unrolled: 1-line block ×3, first 2 shown]
	s_mov_b32 s12, s48
	s_mov_b32 s13, s50
	;; [unrolled: 1-line block ×3, first 2 shown]
	s_waitcnt vmcnt(0)
	v_mov_b32_e32 v1, v43
	s_swappc_b64 s[30:31], s[16:17]
	s_mov_b32 s5, exec_lo
	v_readlane_b32 s4, v74, 8
	v_writelane_b32 v63, s5, 1
	s_and_b32 s4, s5, s4
	s_mov_b32 exec_lo, s4
	s_cbranch_execz .LBB2_3
; %bb.5:                                ;   in Loop: Header=BB2_4 Depth=1
	s_clause 0x1
	buffer_load_dword v1, off, s[0:3], 0 offset:40
	buffer_load_dword v2, off, s[0:3], 0 offset:44
	s_waitcnt vmcnt(1)
	v_lshlrev_b32_e32 v59, 3, v1
	v_ashrrev_i32_e32 v1, 31, v0
	s_waitcnt vmcnt(0)
	v_lshlrev_b64 v[2:3], 3, v[59:60]
	v_lshlrev_b64 v[0:1], 3, v[0:1]
	s_or_saveexec_b32 s105, -1
	buffer_load_dword v74, off, s[0:3], 0   ; 4-byte Folded Reload
	s_mov_b32 exec_lo, s105
	s_clause 0x1
	buffer_load_dword v72, off, s[0:3], 0 offset:48
	buffer_load_dword v73, off, s[0:3], 0 offset:52
	s_waitcnt vmcnt(2)
	v_readlane_b32 s4, v74, 9
	v_readlane_b32 s5, v74, 10
	v_mov_b32_e32 v59, v56
	v_mov_b32_e32 v58, v40
	s_mov_b32 s51, 0
	v_add_co_u32 v44, vcc_lo, s4, v2
	v_add_co_ci_u32_e64 v45, null, s5, v3, vcc_lo
	v_add_co_u32 v61, vcc_lo, s70, v0
	v_add_co_ci_u32_e64 v62, null, s71, v1, vcc_lo
	v_readlane_b32 s6, v74, 11
	v_readlane_b32 s7, v74, 12
	buffer_store_dword v61, off, s[0:3], 0 offset:32 ; 4-byte Folded Spill
	buffer_store_dword v62, off, s[0:3], 0 offset:36 ; 4-byte Folded Spill
	s_branch .LBB2_7
.LBB2_6:                                ;   in Loop: Header=BB2_7 Depth=2
	s_or_b32 exec_lo, exec_lo, s5
	v_add_nc_u32_e32 v58, 8, v58
	v_add_co_u32 v72, s4, v72, 32
	v_add_co_ci_u32_e64 v73, null, 0, v73, s4
	v_cmp_le_i32_e32 vcc_lo, s66, v58
	v_add_nc_u32_e32 v59, 64, v59
	s_or_b32 s51, vcc_lo, s51
	s_andn2_b32 exec_lo, exec_lo, s51
	s_cbranch_execz .LBB2_3
.LBB2_7:                                ;   Parent Loop BB2_4 Depth=1
                                        ; =>  This Inner Loop Header: Depth=2
	s_waitcnt vmcnt(0)
	global_load_dword v47, v[72:73], off
	s_add_u32 s34, s38, 48
	v_mov_b32_e32 v31, v42
	v_mov_b32_e32 v0, s49
	s_addc_u32 s35, s39, 0
	s_getpc_b64 s[36:37]
	s_add_u32 s36, s36, _Z16cuda_ij2intindexii@rel32@lo+4
	s_addc_u32 s37, s37, _Z16cuda_ij2intindexii@rel32@hi+12
	s_mov_b64 s[4:5], s[64:65]
	s_mov_b64 s[6:7], s[54:55]
	;; [unrolled: 1-line block ×4, first 2 shown]
	s_mov_b32 s12, s48
	s_mov_b32 s13, s50
	;; [unrolled: 1-line block ×3, first 2 shown]
	s_waitcnt vmcnt(0)
	v_mov_b32_e32 v1, v47
	s_swappc_b64 s[30:31], s[36:37]
	v_mov_b32_e32 v46, v0
	v_mov_b32_e32 v31, v42
	;; [unrolled: 1-line block ×4, first 2 shown]
	s_mov_b64 s[4:5], s[64:65]
	s_mov_b64 s[6:7], s[54:55]
	;; [unrolled: 1-line block ×4, first 2 shown]
	s_mov_b32 s12, s48
	s_mov_b32 s13, s50
	;; [unrolled: 1-line block ×3, first 2 shown]
	s_swappc_b64 s[30:31], s[36:37]
	v_ashrrev_i32_e32 v47, 31, v46
	s_mov_b32 s5, exec_lo
	v_lshlrev_b64 v[1:2], 3, v[46:47]
	v_add_co_u32 v1, vcc_lo, s70, v1
	v_add_co_ci_u32_e64 v2, null, s71, v2, vcc_lo
	s_clause 0x1
	global_load_dwordx2 v[3:4], v[61:62], off
	global_load_dwordx2 v[5:6], v[1:2], off
	v_ashrrev_i32_e32 v1, 31, v0
	v_lshlrev_b64 v[0:1], 3, v[0:1]
	v_add_co_u32 v0, vcc_lo, s68, v0
	v_add_co_ci_u32_e64 v1, null, s69, v1, vcc_lo
	global_load_dwordx2 v[7:8], v[0:1], off
	s_waitcnt vmcnt(1)
	v_mul_f64 v[0:1], v[3:4], v[5:6]
	s_waitcnt vmcnt(0)
	v_mul_f64 v[0:1], v[0:1], v[7:8]
	v_cmpx_nlt_f64_e64 |v[0:1]|, s[80:81]
	s_cbranch_execz .LBB2_6
; %bb.8:                                ;   in Loop: Header=BB2_7 Depth=2
	s_add_u32 s8, s38, 48
	v_lshlrev_b64 v[0:1], 3, v[59:60]
	s_addc_u32 s9, s39, 0
	v_writelane_b32 v63, s5, 2
	s_or_saveexec_b32 s105, -1
	buffer_load_dword v74, off, s[0:3], 0   ; 4-byte Folded Reload
	s_mov_b32 exec_lo, s105
	s_waitcnt vmcnt(0)
	v_readlane_b32 s4, v74, 9
	v_readlane_b32 s5, v74, 10
	v_readlane_b32 s6, v74, 11
	v_readlane_b32 s7, v74, 12
	s_or_saveexec_b32 s105, -1
	s_mov_b32 exec_lo, s105
	v_readlane_b32 s12, v74, 3
	v_add_co_u32 v6, vcc_lo, s4, v0
	buffer_store_dword v7, off, s[0:3], 0 offset:24 ; 4-byte Folded Spill
	buffer_store_dword v8, off, s[0:3], 0 offset:28 ; 4-byte Folded Spill
	v_add_co_ci_u32_e64 v7, null, s5, v1, vcc_lo
	v_mov_b32_e32 v0, s12
	v_readlane_b32 s12, v74, 4
	s_mov_b64 s[4:5], s[64:65]
	s_getpc_b64 s[16:17]
	s_add_u32 s16, s16, _Z15cuda_rys_pbf_dpPKdS0_S0_S0_@rel32@lo+4
	s_addc_u32 s17, s17, _Z15cuda_rys_pbf_dpPKdS0_S0_S0_@rel32@hi+12
	s_mov_b64 s[6:7], s[54:55]
	s_mov_b64 s[10:11], s[52:53]
	v_mov_b32_e32 v1, s12
	v_readlane_b32 s12, v74, 5
	v_mov_b32_e32 v31, v42
	v_mov_b32_e32 v2, v44
	;; [unrolled: 1-line block ×3, first 2 shown]
	s_mov_b32 s13, s50
	v_mov_b32_e32 v4, s12
	v_readlane_b32 s12, v74, 6
	s_mov_b32 s14, s33
	v_writelane_b32 v63, s51, 3
	v_mov_b32_e32 v5, s12
	s_mov_b32 s12, s48
	s_or_saveexec_b32 s105, -1
	buffer_store_dword v63, off, s[0:3], 0 offset:4 ; 4-byte Folded Spill
	s_mov_b32 exec_lo, s105
	buffer_store_dword v59, off, s[0:3], 0 offset:8 ; 4-byte Folded Spill
	buffer_store_dword v60, off, s[0:3], 0 offset:12 ; 4-byte Folded Spill
	;; [unrolled: 1-line block ×4, first 2 shown]
	s_swappc_b64 s[30:31], s[16:17]
	s_clause 0x5
	buffer_load_dword v72, off, s[0:3], 0 offset:16
	buffer_load_dword v73, off, s[0:3], 0 offset:20
	;; [unrolled: 1-line block ×6, first 2 shown]
	s_or_saveexec_b32 s105, -1
	buffer_load_dword v63, off, s[0:3], 0 offset:4 ; 4-byte Folded Reload
	s_mov_b32 exec_lo, s105
	s_waitcnt vmcnt(0)
	v_readlane_b32 s5, v63, 2
	s_mov_b32 s80, 0x97d889bc
	s_mov_b32 s81, 0x3c9cd2b2
	s_or_saveexec_b32 s105, -1
	buffer_load_dword v74, off, s[0:3], 0   ; 4-byte Folded Reload
	s_mov_b32 exec_lo, s105
	ds_read_b64 v[2:3], v57
	s_clause 0x1
	buffer_load_dword v4, off, s[0:3], 0 offset:24
	buffer_load_dword v5, off, s[0:3], 0 offset:28
	s_waitcnt vmcnt(2)
	v_readlane_b32 s50, v74, 18
	v_readlane_b32 s48, v74, 16
	;; [unrolled: 1-line block ×20, first 2 shown]
	s_waitcnt vmcnt(0) lgkmcnt(0)
	v_fma_f64 v[0:1], v[4:5], v[0:1], v[2:3]
	ds_write_b64 v57, v[0:1]
	s_branch .LBB2_6
.LBB2_9:
	s_or_saveexec_b32 s105, -1
	buffer_load_dword v74, off, s[0:3], 0   ; 4-byte Folded Reload
	s_mov_b32 exec_lo, s105
	s_waitcnt vmcnt(0)
	v_readlane_b32 s4, v74, 2
	s_or_b32 exec_lo, exec_lo, s4
	v_or_b32_e32 v0, v41, v40
	s_waitcnt lgkmcnt(0)
	s_waitcnt_vscnt null, 0x0
	s_barrier
	buffer_gl0_inv
	s_mov_b32 s4, exec_lo
	v_cmpx_eq_u32_e32 0, v0
	s_cbranch_execz .LBB2_11
; %bb.10:
	v_mov_b32_e32 v10, 0
	ds_read_b128 v[0:3], v10
	ds_read_b128 v[4:7], v10 offset:16
	s_waitcnt lgkmcnt(1)
	v_add_f64 v[0:1], v[0:1], 0
	v_add_f64 v[0:1], v[2:3], v[0:1]
	s_waitcnt lgkmcnt(0)
	v_add_f64 v[0:1], v[4:5], v[0:1]
	v_add_f64 v[8:9], v[6:7], v[0:1]
	ds_read_b128 v[0:3], v10 offset:32
	ds_read_b128 v[4:7], v10 offset:48
	s_waitcnt lgkmcnt(1)
	v_add_f64 v[0:1], v[0:1], v[8:9]
	v_add_f64 v[0:1], v[2:3], v[0:1]
	s_waitcnt lgkmcnt(0)
	v_add_f64 v[0:1], v[4:5], v[0:1]
	v_add_f64 v[8:9], v[6:7], v[0:1]
	ds_read_b128 v[0:3], v10 offset:64
	;; [unrolled: 8-line block ×15, first 2 shown]
	ds_read_b128 v[4:7], v10 offset:496
	s_waitcnt lgkmcnt(1)
	v_add_f64 v[0:1], v[0:1], v[8:9]
	v_add_f64 v[0:1], v[2:3], v[0:1]
	s_clause 0x1
	buffer_load_dword v2, off, s[0:3], 0 offset:56
	buffer_load_dword v3, off, s[0:3], 0 offset:60
	s_waitcnt lgkmcnt(0)
	v_add_f64 v[0:1], v[4:5], v[0:1]
	v_add_f64 v[0:1], v[6:7], v[0:1]
	s_waitcnt vmcnt(0)
	v_ashrrev_i32_e32 v3, 31, v2
	v_lshlrev_b64 v[2:3], 3, v[2:3]
	s_or_saveexec_b32 s105, -1
	buffer_load_dword v74, off, s[0:3], 0   ; 4-byte Folded Reload
	s_mov_b32 exec_lo, s105
	s_waitcnt vmcnt(0)
	v_readlane_b32 s4, v74, 0
	v_readlane_b32 s5, v74, 1
	v_add_co_u32 v2, vcc_lo, s4, v2
	v_add_co_ci_u32_e64 v3, null, s5, v3, vcc_lo
	global_store_dwordx2 v[2:3], v[0:1], off
.LBB2_11:
	s_endpgm
	.section	.rodata,"a",@progbits
	.p2align	6, 0x0
	.amdhsa_kernel _Z16cuda_mat_K_PI_dpPKdPKiiS0_PdS0_
		.amdhsa_group_segment_fixed_size 512
		.amdhsa_private_segment_fixed_size 1040
		.amdhsa_kernarg_size 304
		.amdhsa_user_sgpr_count 14
		.amdhsa_user_sgpr_private_segment_buffer 1
		.amdhsa_user_sgpr_dispatch_ptr 1
		.amdhsa_user_sgpr_queue_ptr 1
		.amdhsa_user_sgpr_kernarg_segment_ptr 1
		.amdhsa_user_sgpr_dispatch_id 1
		.amdhsa_user_sgpr_flat_scratch_init 1
		.amdhsa_user_sgpr_private_segment_size 0
		.amdhsa_wavefront_size32 1
		.amdhsa_uses_dynamic_stack 1
		.amdhsa_system_sgpr_private_segment_wavefront_offset 1
		.amdhsa_system_sgpr_workgroup_id_x 1
		.amdhsa_system_sgpr_workgroup_id_y 1
		.amdhsa_system_sgpr_workgroup_id_z 1
		.amdhsa_system_sgpr_workgroup_info 0
		.amdhsa_system_vgpr_workitem_id 2
		.amdhsa_next_free_vgpr max(totalnumvgprs(_Z16cuda_mat_K_PI_dpPKdPKiiS0_PdS0_.num_agpr, _Z16cuda_mat_K_PI_dpPKdPKiiS0_PdS0_.num_vgpr), 1, 0)
		.amdhsa_next_free_sgpr max(_Z16cuda_mat_K_PI_dpPKdPKiiS0_PdS0_.numbered_sgpr+2, 1, 0)-2
		.amdhsa_reserve_vcc 1
		.amdhsa_reserve_flat_scratch 1
		.amdhsa_float_round_mode_32 0
		.amdhsa_float_round_mode_16_64 0
		.amdhsa_float_denorm_mode_32 3
		.amdhsa_float_denorm_mode_16_64 3
		.amdhsa_dx10_clamp 1
		.amdhsa_ieee_mode 1
		.amdhsa_fp16_overflow 0
		.amdhsa_workgroup_processor_mode 1
		.amdhsa_memory_ordered 1
		.amdhsa_forward_progress 1
		.amdhsa_shared_vgpr_count 0
		.amdhsa_exception_fp_ieee_invalid_op 0
		.amdhsa_exception_fp_denorm_src 0
		.amdhsa_exception_fp_ieee_div_zero 0
		.amdhsa_exception_fp_ieee_overflow 0
		.amdhsa_exception_fp_ieee_underflow 0
		.amdhsa_exception_fp_ieee_inexact 0
		.amdhsa_exception_int_div_zero 0
	.end_amdhsa_kernel
	.text
.Lfunc_end2:
	.size	_Z16cuda_mat_K_PI_dpPKdPKiiS0_PdS0_, .Lfunc_end2-_Z16cuda_mat_K_PI_dpPKdPKiiS0_PdS0_
                                        ; -- End function
	.set _Z16cuda_mat_K_PI_dpPKdPKiiS0_PdS0_.num_vgpr, max(75, amdgpu.max_num_vgpr)
	.set _Z16cuda_mat_K_PI_dpPKdPKiiS0_PdS0_.num_agpr, max(0, amdgpu.max_num_agpr)
	.set _Z16cuda_mat_K_PI_dpPKdPKiiS0_PdS0_.numbered_sgpr, max(106, amdgpu.max_num_sgpr)
	.set _Z16cuda_mat_K_PI_dpPKdPKiiS0_PdS0_.num_named_barrier, max(0, amdgpu.max_num_named_barrier)
	.set _Z16cuda_mat_K_PI_dpPKdPKiiS0_PdS0_.private_seg_size, 80+max(.L_Z15cuda_rys_pbf_dpPKdS0_S0_S0_.private_seg_size)
	.set _Z16cuda_mat_K_PI_dpPKdPKiiS0_PdS0_.uses_vcc, 1
	.set _Z16cuda_mat_K_PI_dpPKdPKiiS0_PdS0_.uses_flat_scratch, 1
	.set _Z16cuda_mat_K_PI_dpPKdPKiiS0_PdS0_.has_dyn_sized_stack, 1
	.set _Z16cuda_mat_K_PI_dpPKdPKiiS0_PdS0_.has_recursion, 1
	.set _Z16cuda_mat_K_PI_dpPKdPKiiS0_PdS0_.has_indirect_call, 1
	.section	.AMDGPU.csdata,"",@progbits
; Kernel info:
; codeLenInByte = 3228
; TotalNumSgprs: _Z16cuda_mat_K_PI_dpPKdPKiiS0_PdS0_.numbered_sgpr+2
; NumVgprs: _Z16cuda_mat_K_PI_dpPKdPKiiS0_PdS0_.num_vgpr
; ScratchSize: 1040
; MemoryBound: 0
; FloatMode: 240
; IeeeMode: 1
; LDSByteSize: 512 bytes/workgroup (compile time only)
; SGPRBlocks: 0
; VGPRBlocks: (alignto(max(max(totalnumvgprs(_Z16cuda_mat_K_PI_dpPKdPKiiS0_PdS0_.num_agpr, _Z16cuda_mat_K_PI_dpPKdPKiiS0_PdS0_.num_vgpr), 1, 0), 1), 8)/8)-1
; NumSGPRsForWavesPerEU: max(_Z16cuda_mat_K_PI_dpPKdPKiiS0_PdS0_.numbered_sgpr+2, 1, 0)
; NumVGPRsForWavesPerEU: max(totalnumvgprs(_Z16cuda_mat_K_PI_dpPKdPKiiS0_PdS0_.num_agpr, _Z16cuda_mat_K_PI_dpPKdPKiiS0_PdS0_.num_vgpr), 1, 0)
; Occupancy: occupancy(16, 16, 1024, 9, 16, max(_Z16cuda_mat_K_PI_dpPKdPKiiS0_PdS0_.numbered_sgpr+extrasgprs(_Z16cuda_mat_K_PI_dpPKdPKiiS0_PdS0_.uses_vcc, _Z16cuda_mat_K_PI_dpPKdPKiiS0_PdS0_.uses_flat_scratch, 0), 1, 0), max(totalnumvgprs(_Z16cuda_mat_K_PI_dpPKdPKiiS0_PdS0_.num_agpr, _Z16cuda_mat_K_PI_dpPKdPKiiS0_PdS0_.num_vgpr), 1, 0))
; WaveLimiterHint : 1
; COMPUTE_PGM_RSRC2:SCRATCH_EN: 1
; COMPUTE_PGM_RSRC2:USER_SGPR: 14
; COMPUTE_PGM_RSRC2:TRAP_HANDLER: 0
; COMPUTE_PGM_RSRC2:TGID_X_EN: 1
; COMPUTE_PGM_RSRC2:TGID_Y_EN: 1
; COMPUTE_PGM_RSRC2:TGID_Z_EN: 1
; COMPUTE_PGM_RSRC2:TIDIG_COMP_CNT: 2
	.text
	.p2alignl 6, 3214868480
	.fill 48, 4, 3214868480
	.section	.AMDGPU.gpr_maximums,"",@progbits
	.set amdgpu.max_num_vgpr, 128
	.set amdgpu.max_num_agpr, 0
	.set amdgpu.max_num_sgpr, 105
	.text
	.type	__hip_cuid_eb17725ac0ac0c26,@object ; @__hip_cuid_eb17725ac0ac0c26
	.section	.bss,"aw",@nobits
	.globl	__hip_cuid_eb17725ac0ac0c26
__hip_cuid_eb17725ac0ac0c26:
	.byte	0                               ; 0x0
	.size	__hip_cuid_eb17725ac0ac0c26, 1

	.hidden	_Z13cuda_binomialii
	.hidden	_Z16cuda_ij2intindexii
	.ident	"AMD clang version 22.0.0git (https://github.com/RadeonOpenCompute/llvm-project roc-7.2.4 26084 f58b06dce1f9c15707c5f808fd002e18c2accf7e)"
	.section	".note.GNU-stack","",@progbits
	.addrsig
	.addrsig_sym __hip_cuid_eb17725ac0ac0c26
	.amdgpu_metadata
---
amdhsa.kernels:
  - .args:
      - .actual_access:  read_only
        .address_space:  global
        .offset:         0
        .size:           8
        .value_kind:     global_buffer
      - .actual_access:  read_only
        .address_space:  global
        .offset:         8
        .size:           8
        .value_kind:     global_buffer
      - .offset:         16
        .size:           4
        .value_kind:     by_value
      - .actual_access:  read_only
        .address_space:  global
        .offset:         24
        .size:           8
        .value_kind:     global_buffer
      - .actual_access:  write_only
        .address_space:  global
        .offset:         32
        .size:           8
        .value_kind:     global_buffer
      - .actual_access:  read_only
        .address_space:  global
        .offset:         40
        .size:           8
        .value_kind:     global_buffer
      - .offset:         48
        .size:           4
        .value_kind:     hidden_block_count_x
      - .offset:         52
        .size:           4
        .value_kind:     hidden_block_count_y
      - .offset:         56
        .size:           4
        .value_kind:     hidden_block_count_z
      - .offset:         60
        .size:           2
        .value_kind:     hidden_group_size_x
      - .offset:         62
        .size:           2
        .value_kind:     hidden_group_size_y
      - .offset:         64
        .size:           2
        .value_kind:     hidden_group_size_z
      - .offset:         66
        .size:           2
        .value_kind:     hidden_remainder_x
      - .offset:         68
        .size:           2
        .value_kind:     hidden_remainder_y
      - .offset:         70
        .size:           2
        .value_kind:     hidden_remainder_z
      - .offset:         88
        .size:           8
        .value_kind:     hidden_global_offset_x
      - .offset:         96
        .size:           8
        .value_kind:     hidden_global_offset_y
      - .offset:         104
        .size:           8
        .value_kind:     hidden_global_offset_z
      - .offset:         112
        .size:           2
        .value_kind:     hidden_grid_dims
      - .offset:         128
        .size:           8
        .value_kind:     hidden_hostcall_buffer
      - .offset:         136
        .size:           8
        .value_kind:     hidden_multigrid_sync_arg
      - .offset:         144
        .size:           8
        .value_kind:     hidden_heap_v1
      - .offset:         152
        .size:           8
        .value_kind:     hidden_default_queue
      - .offset:         160
        .size:           8
        .value_kind:     hidden_completion_action
      - .offset:         248
        .size:           8
        .value_kind:     hidden_queue_ptr
    .group_segment_fixed_size: 512
    .kernarg_segment_align: 8
    .kernarg_segment_size: 304
    .language:       OpenCL C
    .language_version:
      - 2
      - 0
    .max_flat_workgroup_size: 1024
    .name:           _Z16cuda_mat_J_PI_dpPKdPKiiS0_PdS0_
    .private_segment_fixed_size: 1040
    .sgpr_count:     108
    .sgpr_spill_count: 33
    .symbol:         _Z16cuda_mat_J_PI_dpPKdPKiiS0_PdS0_.kd
    .uniform_work_group_size: 1
    .uses_dynamic_stack: true
    .vgpr_count:     128
    .vgpr_spill_count: 16
    .wavefront_size: 32
    .workgroup_processor_mode: 1
  - .args:
      - .actual_access:  read_only
        .address_space:  global
        .offset:         0
        .size:           8
        .value_kind:     global_buffer
      - .actual_access:  read_only
        .address_space:  global
        .offset:         8
        .size:           8
        .value_kind:     global_buffer
      - .offset:         16
        .size:           4
        .value_kind:     by_value
      - .actual_access:  read_only
        .address_space:  global
        .offset:         24
        .size:           8
        .value_kind:     global_buffer
      - .actual_access:  write_only
        .address_space:  global
        .offset:         32
        .size:           8
        .value_kind:     global_buffer
      - .actual_access:  read_only
        .address_space:  global
        .offset:         40
        .size:           8
        .value_kind:     global_buffer
      - .offset:         48
        .size:           4
        .value_kind:     hidden_block_count_x
      - .offset:         52
        .size:           4
        .value_kind:     hidden_block_count_y
      - .offset:         56
        .size:           4
        .value_kind:     hidden_block_count_z
      - .offset:         60
        .size:           2
        .value_kind:     hidden_group_size_x
      - .offset:         62
        .size:           2
        .value_kind:     hidden_group_size_y
      - .offset:         64
        .size:           2
        .value_kind:     hidden_group_size_z
      - .offset:         66
        .size:           2
        .value_kind:     hidden_remainder_x
      - .offset:         68
        .size:           2
        .value_kind:     hidden_remainder_y
      - .offset:         70
        .size:           2
        .value_kind:     hidden_remainder_z
      - .offset:         88
        .size:           8
        .value_kind:     hidden_global_offset_x
      - .offset:         96
        .size:           8
        .value_kind:     hidden_global_offset_y
      - .offset:         104
        .size:           8
        .value_kind:     hidden_global_offset_z
      - .offset:         112
        .size:           2
        .value_kind:     hidden_grid_dims
      - .offset:         128
        .size:           8
        .value_kind:     hidden_hostcall_buffer
      - .offset:         136
        .size:           8
        .value_kind:     hidden_multigrid_sync_arg
      - .offset:         144
        .size:           8
        .value_kind:     hidden_heap_v1
      - .offset:         152
        .size:           8
        .value_kind:     hidden_default_queue
      - .offset:         160
        .size:           8
        .value_kind:     hidden_completion_action
      - .offset:         248
        .size:           8
        .value_kind:     hidden_queue_ptr
    .group_segment_fixed_size: 512
    .kernarg_segment_align: 8
    .kernarg_segment_size: 304
    .language:       OpenCL C
    .language_version:
      - 2
      - 0
    .max_flat_workgroup_size: 1024
    .name:           _Z16cuda_mat_K_PI_dpPKdPKiiS0_PdS0_
    .private_segment_fixed_size: 1040
    .sgpr_count:     108
    .sgpr_spill_count: 36
    .symbol:         _Z16cuda_mat_K_PI_dpPKdPKiiS0_PdS0_.kd
    .uniform_work_group_size: 1
    .uses_dynamic_stack: true
    .vgpr_count:     128
    .vgpr_spill_count: 17
    .wavefront_size: 32
    .workgroup_processor_mode: 1
amdhsa.target:   amdgcn-amd-amdhsa--gfx1030
amdhsa.version:
  - 1
  - 2
...

	.end_amdgpu_metadata
